;; amdgpu-corpus repo=ROCm/rocFFT kind=compiled arch=gfx950 opt=O3
	.text
	.amdgcn_target "amdgcn-amd-amdhsa--gfx950"
	.amdhsa_code_object_version 6
	.protected	bluestein_single_back_len2016_dim1_dp_op_CI_CI ; -- Begin function bluestein_single_back_len2016_dim1_dp_op_CI_CI
	.globl	bluestein_single_back_len2016_dim1_dp_op_CI_CI
	.p2align	8
	.type	bluestein_single_back_len2016_dim1_dp_op_CI_CI,@function
bluestein_single_back_len2016_dim1_dp_op_CI_CI: ; @bluestein_single_back_len2016_dim1_dp_op_CI_CI
; %bb.0:
	s_load_dwordx4 s[16:19], s[0:1], 0x28
	v_mul_u32_u24_e32 v1, 0x24a, v0
	v_lshrrev_b32_e32 v9, 16, v1
	v_lshl_add_u32 v158, s2, 1, v9
	v_mov_b32_e32 v159, 0
	s_waitcnt lgkmcnt(0)
	v_cmp_gt_u64_e32 vcc, s[16:17], v[158:159]
	s_and_saveexec_b64 s[2:3], vcc
	s_cbranch_execz .LBB0_10
; %bb.1:
	s_load_dwordx4 s[4:7], s[0:1], 0x18
	s_load_dwordx4 s[8:11], s[0:1], 0x0
	v_mul_lo_u16_e32 v1, 0x70, v9
	v_sub_u16_e32 v8, v0, v1
	v_mov_b32_e32 v2, s18
	s_waitcnt lgkmcnt(0)
	s_load_dwordx4 s[12:15], s[4:5], 0x0
	v_mov_b32_e32 v3, s19
	v_lshlrev_b32_e32 v14, 4, v8
	v_mov_b32_e32 v15, v159
	v_lshl_add_u64 v[10:11], s[8:9], 0, v[14:15]
	s_waitcnt lgkmcnt(0)
	v_mad_u64_u32 v[0:1], s[2:3], s14, v158, 0
	v_mov_b32_e32 v4, v1
	v_mad_u64_u32 v[4:5], s[2:3], s15, v158, v[4:5]
	v_mov_b32_e32 v1, v4
	v_mad_u64_u32 v[4:5], s[2:3], s12, v8, 0
	v_mov_b32_e32 v6, v5
	v_mad_u64_u32 v[6:7], s[2:3], s13, v8, v[6:7]
	v_mov_b32_e32 v5, v6
	v_lshl_add_u64 v[12:13], v[0:1], 4, v[2:3]
	v_lshl_add_u64 v[4:5], v[4:5], 4, v[12:13]
	v_mov_b32_e32 v15, 0x3f00
	v_mad_u64_u32 v[18:19], s[2:3], s12, v15, v[4:5]
	s_mul_i32 s2, s13, 0x3f00
	s_nop 0
	v_add_u32_e32 v19, s2, v19
	s_movk_i32 s17, 0x3000
	v_mov_b32_e32 v54, 0xffffc800
	s_mul_i32 s3, s13, 0xffffc800
	v_add_co_u32_e32 v16, vcc, s17, v10
	v_mad_u64_u32 v[20:21], s[4:5], s12, v54, v[18:19]
	s_sub_i32 s3, s3, s12
	global_load_dwordx4 v[0:3], v[4:5], off
	global_load_dwordx4 v[56:59], v14, s[8:9]
	v_addc_co_u32_e32 v17, vcc, 0, v11, vcc
	v_add_u32_e32 v21, s3, v21
	global_load_dwordx4 v[42:45], v[16:17], off offset:3840
	global_load_dwordx4 v[28:31], v[18:19], off
	global_load_dwordx4 v[4:7], v[20:21], off
	global_load_dwordx4 v[46:49], v14, s[8:9] offset:1792
	v_mad_u64_u32 v[18:19], s[4:5], s12, v15, v[20:21]
	s_movk_i32 s4, 0x4000
	s_nop 0
	v_add_co_u32_e32 v20, vcc, s4, v10
	v_add_u32_e32 v19, s2, v19
	s_nop 0
	v_addc_co_u32_e32 v21, vcc, 0, v11, vcc
	global_load_dwordx4 v[50:53], v[20:21], off offset:1536
	global_load_dwordx4 v[32:35], v[18:19], off
	s_mov_b32 s14, 0
	v_and_b32_e32 v22, 1, v9
	v_mov_b32_e32 v23, 0x7e0
	s_mov_b64 s[4:5], 0x70
	v_mov_b32_e32 v9, s14
	v_cmp_eq_u32_e32 vcc, 1, v22
	v_lshl_add_u64 v[132:133], v[8:9], 0, s[4:5]
	s_load_dwordx4 s[4:7], s[6:7], 0x0
	v_cndmask_b32_e32 v22, 0, v23, vcc
	global_load_dwordx4 v[68:71], v14, s[8:9] offset:3584
	global_load_dwordx4 v[64:67], v[20:21], off offset:3328
	global_load_dwordx4 v[72:75], v[16:17], off offset:256
	v_mad_u64_u32 v[20:21], s[14:15], s12, v54, v[18:19]
	v_lshlrev_b32_e32 v137, 4, v22
	v_add_u32_e32 v21, s3, v21
	v_add_u32_e32 v136, v137, v14
	v_mad_u64_u32 v[24:25], s[14:15], s12, v15, v[20:21]
	v_add_u32_e32 v25, s2, v25
	v_mad_u64_u32 v[40:41], s[14:15], s12, v54, v[24:25]
	s_movk_i32 s16, 0x1000
	v_add_u32_e32 v41, s3, v41
	global_load_dwordx4 v[16:19], v[20:21], off
	v_or_b32_e32 v62, 0x700, v8
	global_load_dwordx4 v[20:23], v[24:25], off
	v_or_b32_e32 v84, 0x380, v8
	global_load_dwordx4 v[24:27], v[40:41], off
	v_accvgpr_write_b32 a29, v62
	v_and_b32_e32 v124, 1, v8
	v_accvgpr_write_b32 a38, v84
	v_and_b32_e32 v128, 3, v8
	v_and_b32_e32 v133, 7, v8
	s_movk_i32 s18, 0xffa0
	s_mov_b32 s19, -1
	v_accvgpr_write_b32 a28, v158
                                        ; implicit-def: $vgpr248_vgpr249
                                        ; implicit-def: $vgpr252_vgpr253
	s_waitcnt vmcnt(12)
	v_accvgpr_write_b32 a24, v56
	v_mul_f64 v[36:37], v[2:3], v[58:59]
	v_mul_f64 v[38:39], v[0:1], v[58:59]
	v_fmac_f64_e32 v[36:37], v[0:1], v[56:57]
	v_fma_f64 v[38:39], v[2:3], v[56:57], -v[38:39]
	s_waitcnt vmcnt(10)
	v_mul_f64 v[0:1], v[30:31], v[44:45]
	v_mul_f64 v[2:3], v[28:29], v[44:45]
	v_fmac_f64_e32 v[0:1], v[28:29], v[42:43]
	v_fma_f64 v[2:3], v[30:31], v[42:43], -v[2:3]
	ds_write_b128 v136, v[0:3] offset:16128
	s_waitcnt vmcnt(8)
	v_mul_f64 v[0:1], v[6:7], v[48:49]
	v_mul_f64 v[2:3], v[4:5], v[48:49]
	v_fmac_f64_e32 v[0:1], v[4:5], v[46:47]
	v_fma_f64 v[2:3], v[6:7], v[46:47], -v[2:3]
	ds_write_b128 v136, v[0:3] offset:1792
	s_waitcnt vmcnt(6)
	v_mul_f64 v[0:1], v[34:35], v[52:53]
	v_mul_f64 v[2:3], v[32:33], v[52:53]
	v_fmac_f64_e32 v[0:1], v[32:33], v[50:51]
	v_add_co_u32_e32 v32, vcc, s16, v10
	v_mad_u64_u32 v[28:29], s[14:15], s12, v15, v[40:41]
	s_nop 0
	v_addc_co_u32_e32 v33, vcc, 0, v11, vcc
	v_add_u32_e32 v29, s2, v29
	s_movk_i32 s14, 0x5000
	ds_write_b128 v136, v[36:39]
	v_fma_f64 v[2:3], v[34:35], v[50:51], -v[2:3]
	v_add_co_u32_e32 v36, vcc, s14, v10
	v_mad_u64_u32 v[34:35], s[14:15], s12, v54, v[28:29]
	v_add_u32_e32 v35, s3, v35
	v_mad_u64_u32 v[38:39], s[14:15], s12, v15, v[34:35]
	v_add_u32_e32 v39, s2, v39
	v_mad_u64_u32 v[40:41], s[14:15], s12, v54, v[38:39]
	v_accvgpr_write_b32 a0, v42
	v_accvgpr_write_b32 a4, v46
	v_addc_co_u32_e32 v37, vcc, 0, v11, vcc
	v_add_u32_e32 v41, s3, v41
	s_movk_i32 s14, 0x2000
	v_accvgpr_write_b32 a1, v43
	v_accvgpr_write_b32 a2, v44
	;; [unrolled: 1-line block ×6, first 2 shown]
	v_add_co_u32_e32 v48, vcc, s14, v10
	v_mad_u64_u32 v[44:45], s[14:15], s12, v15, v[40:41]
	v_accvgpr_write_b32 a8, v50
	v_addc_co_u32_e32 v49, vcc, 0, v11, vcc
	v_add_u32_e32 v45, s2, v45
	s_movk_i32 s14, 0x6000
	v_accvgpr_write_b32 a9, v51
	v_accvgpr_write_b32 a10, v52
	;; [unrolled: 1-line block ×3, first 2 shown]
	global_load_dwordx4 v[4:7], v[28:29], off
	s_nop 0
	global_load_dwordx4 v[28:31], v[34:35], off
	global_load_dwordx4 v[118:121], v[32:33], off offset:1280
	global_load_dwordx4 v[94:97], v[32:33], off offset:3072
	v_add_co_u32_e32 v52, vcc, s14, v10
	v_mad_u64_u32 v[50:51], s[14:15], s12, v54, v[44:45]
	v_add_u32_e32 v51, s3, v51
	global_load_dwordx4 v[32:35], v[38:39], off
	global_load_dwordx4 v[110:113], v[36:37], off offset:1024
	global_load_dwordx4 v[90:93], v[36:37], off offset:2816
	v_mad_u64_u32 v[14:15], s[14:15], s12, v15, v[50:51]
	v_add_u32_e32 v15, s2, v15
	v_mad_u64_u32 v[60:61], s[14:15], s12, v54, v[14:15]
	global_load_dwordx4 v[36:39], v[40:41], off
	v_addc_co_u32_e32 v53, vcc, 0, v11, vcc
	global_load_dwordx4 v[40:43], v[44:45], off
	s_nop 0
	global_load_dwordx4 v[44:47], v[50:51], off
	global_load_dwordx4 v[106:109], v[48:49], off offset:768
	global_load_dwordx4 v[86:89], v[48:49], off offset:2560
	s_nop 0
	global_load_dwordx4 v[48:51], v[14:15], off
	global_load_dwordx4 v[98:101], v[52:53], off offset:512
	global_load_dwordx4 v[80:83], v[52:53], off offset:2304
	v_add_u32_e32 v61, s3, v61
	v_mad_u64_u32 v[14:15], s[2:3], s12, v62, 0
	v_accvgpr_write_b32 a25, v57
	v_accvgpr_write_b32 a26, v58
	;; [unrolled: 1-line block ×3, first 2 shown]
	v_mov_b32_e32 v56, v15
	v_mad_u64_u32 v[56:57], s[2:3], s13, v62, v[56:57]
	v_mov_b32_e32 v15, v56
	v_lshl_add_u64 v[14:15], v[14:15], 4, v[12:13]
	global_load_dwordx4 v[56:59], v[14:15], off
	v_lshlrev_b32_e32 v14, 4, v62
	v_accvgpr_write_b32 a133, v14
	global_load_dwordx4 v[76:79], v14, s[8:9]
	v_mad_u64_u32 v[14:15], s[2:3], s12, v84, 0
	v_mov_b32_e32 v62, v15
	v_mad_u64_u32 v[62:63], s[2:3], s13, v84, v[62:63]
	v_mov_b32_e32 v15, v62
	v_lshlrev_b32_e32 v62, 4, v84
	global_load_dwordx4 v[52:55], v[60:61], off
	v_accvgpr_write_b32 a130, v62
	global_load_dwordx4 v[102:105], v62, s[8:9]
	v_mov_b32_e32 v62, 0x4600
	v_mad_u64_u32 v[60:61], s[2:3], s12, v62, v[60:61]
	s_mul_i32 s2, s13, 0x4600
	v_lshl_add_u64 v[12:13], v[14:15], 4, v[12:13]
	v_add_u32_e32 v61, s2, v61
	s_movk_i32 s2, 0x7000
	global_load_dwordx4 v[12:15], v[12:13], off
	v_add_co_u32_e32 v10, vcc, s2, v10
	global_load_dwordx4 v[60:63], v[60:61], off
	s_nop 0
	v_addc_co_u32_e32 v11, vcc, 0, v11, vcc
	global_load_dwordx4 v[114:117], v[10:11], off offset:1792
	ds_write_b128 v136, v[0:3] offset:17920
	s_waitcnt vmcnt(24)
	v_mul_f64 v[0:1], v[18:19], v[70:71]
	v_mul_f64 v[2:3], v[16:17], v[70:71]
	v_fmac_f64_e32 v[0:1], v[16:17], v[68:69]
	v_fma_f64 v[2:3], v[18:19], v[68:69], -v[2:3]
	ds_write_b128 v136, v[0:3] offset:3584
	s_waitcnt vmcnt(23)
	v_mul_f64 v[0:1], v[22:23], v[66:67]
	v_mul_f64 v[2:3], v[20:21], v[66:67]
	v_fmac_f64_e32 v[0:1], v[20:21], v[64:65]
	v_fma_f64 v[2:3], v[22:23], v[64:65], -v[2:3]
	ds_write_b128 v136, v[0:3] offset:19712
	v_accvgpr_write_b32 a16, v68
	v_accvgpr_write_b32 a12, v64
	;; [unrolled: 1-line block ×11, first 2 shown]
	s_waitcnt vmcnt(19)
	v_mul_f64 v[0:1], v[26:27], v[120:121]
	v_mul_f64 v[2:3], v[24:25], v[120:121]
	v_fmac_f64_e32 v[0:1], v[24:25], v[118:119]
	v_fma_f64 v[2:3], v[26:27], v[118:119], -v[2:3]
	ds_write_b128 v136, v[0:3] offset:5376
	v_accvgpr_write_b32 a23, v75
	s_waitcnt vmcnt(16)
	v_mul_f64 v[0:1], v[6:7], v[112:113]
	v_mul_f64 v[2:3], v[4:5], v[112:113]
	v_fmac_f64_e32 v[0:1], v[4:5], v[110:111]
	v_fma_f64 v[2:3], v[6:7], v[110:111], -v[2:3]
	ds_write_b128 v136, v[0:3] offset:21504
	v_mul_f64 v[0:1], v[30:31], v[96:97]
	v_mul_f64 v[2:3], v[28:29], v[96:97]
	v_fmac_f64_e32 v[0:1], v[28:29], v[94:95]
	v_fma_f64 v[2:3], v[30:31], v[94:95], -v[2:3]
	ds_write_b128 v136, v[0:3] offset:7168
	s_waitcnt vmcnt(15)
	v_mul_f64 v[0:1], v[34:35], v[92:93]
	v_mul_f64 v[2:3], v[32:33], v[92:93]
	v_fmac_f64_e32 v[0:1], v[32:33], v[90:91]
	v_fma_f64 v[2:3], v[34:35], v[90:91], -v[2:3]
	ds_write_b128 v136, v[0:3] offset:23296
	s_waitcnt vmcnt(11)
	;; [unrolled: 6-line block ×3, first 2 shown]
	v_mul_f64 v[0:1], v[42:43], v[100:101]
	v_mul_f64 v[2:3], v[40:41], v[100:101]
	v_fmac_f64_e32 v[0:1], v[40:41], v[98:99]
	v_fma_f64 v[2:3], v[42:43], v[98:99], -v[2:3]
	ds_write_b128 v136, v[0:3] offset:25088
	v_mul_f64 v[0:1], v[46:47], v[88:89]
	v_mul_f64 v[2:3], v[44:45], v[88:89]
	v_fmac_f64_e32 v[0:1], v[44:45], v[86:87]
	v_fma_f64 v[2:3], v[46:47], v[86:87], -v[2:3]
	ds_write_b128 v136, v[0:3] offset:10752
	s_waitcnt vmcnt(7)
	v_mul_f64 v[0:1], v[50:51], v[82:83]
	v_mul_f64 v[2:3], v[48:49], v[82:83]
	v_fmac_f64_e32 v[0:1], v[48:49], v[80:81]
	v_fma_f64 v[2:3], v[50:51], v[80:81], -v[2:3]
	ds_write_b128 v136, v[0:3] offset:26880
	s_waitcnt vmcnt(4)
	v_mul_f64 v[2:3], v[54:55], v[74:75]
	v_mul_f64 v[4:5], v[52:53], v[74:75]
	v_fmac_f64_e32 v[2:3], v[52:53], v[72:73]
	v_fma_f64 v[4:5], v[54:55], v[72:73], -v[4:5]
	ds_write_b128 v136, v[2:5] offset:12544
	v_mul_f64 v[2:3], v[58:59], v[78:79]
	v_mul_f64 v[4:5], v[56:57], v[78:79]
	v_fmac_f64_e32 v[2:3], v[56:57], v[76:77]
	v_fma_f64 v[4:5], v[58:59], v[76:77], -v[4:5]
	ds_write_b128 v136, v[2:5] offset:28672
	s_waitcnt vmcnt(2)
	v_mul_f64 v[2:3], v[14:15], v[104:105]
	v_mul_f64 v[4:5], v[12:13], v[104:105]
	v_fmac_f64_e32 v[2:3], v[12:13], v[102:103]
	v_fma_f64 v[4:5], v[14:15], v[102:103], -v[4:5]
	ds_write_b128 v136, v[2:5] offset:14336
	v_accvgpr_write_b32 a30, v76
	s_waitcnt vmcnt(0)
	v_mul_f64 v[2:3], v[62:63], v[116:117]
	v_mul_f64 v[4:5], v[60:61], v[116:117]
	v_fmac_f64_e32 v[2:3], v[60:61], v[114:115]
	v_fma_f64 v[4:5], v[62:63], v[114:115], -v[4:5]
	v_accvgpr_write_b32 a31, v77
	v_accvgpr_write_b32 a32, v78
	;; [unrolled: 1-line block ×3, first 2 shown]
	ds_write_b128 v136, v[2:5] offset:30464
	s_waitcnt lgkmcnt(0)
	s_barrier
	ds_read_b128 v[2:5], v136 offset:16128
	ds_read_b128 v[12:15], v136
	ds_read_b128 v[16:19], v136 offset:1792
	ds_read_b128 v[20:23], v136 offset:17920
	;; [unrolled: 1-line block ×16, first 2 shown]
	s_waitcnt lgkmcnt(14)
	v_add_f64 v[2:3], v[12:13], -v[2:3]
	v_add_f64 v[4:5], v[14:15], -v[4:5]
	s_mov_b64 s[2:3], 0xe0
	v_fma_f64 v[12:13], v[12:13], 2.0, -v[2:3]
	v_fma_f64 v[14:15], v[14:15], 2.0, -v[4:5]
	v_add_f64 v[20:21], v[16:17], -v[20:21]
	v_add_f64 v[22:23], v[18:19], -v[22:23]
	v_lshl_add_u32 v1, v8, 5, v137
	v_lshl_add_u64 v[10:11], v[8:9], 0, s[2:3]
	s_mov_b64 s[2:3], 0x150
	v_fma_f64 v[16:17], v[16:17], 2.0, -v[20:21]
	v_fma_f64 v[18:19], v[18:19], 2.0, -v[22:23]
	s_waitcnt lgkmcnt(12)
	v_add_f64 v[24:25], v[28:29], -v[24:25]
	v_add_f64 v[26:27], v[30:31], -v[26:27]
	s_waitcnt lgkmcnt(0)
	s_barrier
	ds_write_b128 v1, v[12:15]
	v_accvgpr_write_b32 a39, v1
	ds_write_b128 v1, v[2:5] offset:16
	v_lshl_add_u32 v1, v132, 5, v137
	v_lshl_add_u64 v[140:141], v[8:9], 0, s[2:3]
	s_mov_b64 s[2:3], 0x1c0
	v_fma_f64 v[28:29], v[28:29], 2.0, -v[24:25]
	v_fma_f64 v[30:31], v[30:31], 2.0, -v[26:27]
	v_add_f64 v[36:37], v[32:33], -v[36:37]
	v_add_f64 v[38:39], v[34:35], -v[38:39]
	ds_write_b128 v1, v[16:19]
	v_accvgpr_write_b32 a76, v1
	ds_write_b128 v1, v[20:23] offset:16
	v_lshl_add_u32 v1, v10, 5, v137
	v_lshl_add_u64 v[148:149], v[8:9], 0, s[2:3]
	s_mov_b64 s[2:3], 0x230
	v_fma_f64 v[32:33], v[32:33], 2.0, -v[36:37]
	v_fma_f64 v[34:35], v[34:35], 2.0, -v[38:39]
	v_add_f64 v[40:41], v[44:45], -v[40:41]
	v_add_f64 v[42:43], v[46:47], -v[42:43]
	ds_write_b128 v1, v[28:31]
	v_accvgpr_write_b32 a77, v1
	ds_write_b128 v1, v[24:27] offset:16
	v_lshl_add_u32 v1, v140, 5, v137
	v_lshl_add_u64 v[156:157], v[8:9], 0, s[2:3]
	v_fma_f64 v[44:45], v[44:45], 2.0, -v[40:41]
	v_fma_f64 v[46:47], v[46:47], 2.0, -v[42:43]
	v_add_f64 v[52:53], v[48:49], -v[52:53]
	v_add_f64 v[54:55], v[50:51], -v[54:55]
	ds_write_b128 v1, v[32:35]
	v_accvgpr_write_b32 a78, v1
	ds_write_b128 v1, v[36:39] offset:16
	v_lshl_add_u32 v1, v148, 5, v137
	v_lshlrev_b32_e32 v0, 1, v8
	v_fma_f64 v[48:49], v[48:49], 2.0, -v[52:53]
	v_fma_f64 v[50:51], v[50:51], 2.0, -v[54:55]
	ds_write_b128 v1, v[44:47]
	v_accvgpr_write_b32 a79, v1
	ds_write_b128 v1, v[40:43] offset:16
	v_lshl_add_u32 v1, v156, 5, v137
	v_add_f64 v[56:57], v[60:61], -v[56:57]
	v_add_f64 v[58:59], v[62:63], -v[58:59]
	ds_write_b128 v1, v[48:51]
	v_accvgpr_write_b32 a80, v1
	ds_write_b128 v1, v[52:55] offset:16
	v_add_u32_e32 v1, 0x540, v0
	v_fma_f64 v[60:61], v[60:61], 2.0, -v[56:57]
	v_fma_f64 v[62:63], v[62:63], 2.0, -v[58:59]
	v_lshl_add_u32 v2, v1, 4, v137
	v_add_f64 v[72:73], v[64:65], -v[72:73]
	v_add_f64 v[74:75], v[66:67], -v[74:75]
	ds_write_b128 v2, v[60:63]
	v_accvgpr_write_b32 a81, v2
	ds_write_b128 v2, v[56:59] offset:16
	v_add_u32_e32 v2, 0x620, v0
	v_fma_f64 v[64:65], v[64:65], 2.0, -v[72:73]
	v_fma_f64 v[66:67], v[66:67], 2.0, -v[74:75]
	v_add_f64 v[76:77], v[68:69], -v[76:77]
	v_add_f64 v[78:79], v[70:71], -v[78:79]
	v_lshl_add_u32 v3, v2, 4, v137
	v_fma_f64 v[68:69], v[68:69], 2.0, -v[76:77]
	v_fma_f64 v[70:71], v[70:71], 2.0, -v[78:79]
	ds_write_b128 v3, v[64:67]
	v_accvgpr_write_b32 a82, v3
	ds_write_b128 v3, v[72:75] offset:16
	v_lshl_add_u32 v3, v84, 5, v137
	ds_write_b128 v3, v[68:71]
	v_accvgpr_write_b32 a83, v3
	ds_write_b128 v3, v[76:79] offset:16
	v_lshlrev_b32_e32 v3, 4, v124
	s_waitcnt lgkmcnt(0)
	s_barrier
	global_load_dwordx4 v[72:75], v3, s[10:11]
	v_accvgpr_write_b32 a40, v86
	v_accvgpr_write_b32 a34, v80
	;; [unrolled: 1-line block ×9, first 2 shown]
	v_lshlrev_b32_e32 v3, 1, v84
	ds_read_b128 v[12:15], v136 offset:16128
	ds_read_b128 v[16:19], v136
	ds_read_b128 v[20:23], v136 offset:1792
	ds_read_b128 v[24:27], v136 offset:17920
	;; [unrolled: 1-line block ×16, first 2 shown]
	v_accvgpr_write_b32 a45, v91
	v_accvgpr_write_b32 a46, v92
	;; [unrolled: 1-line block ×28, first 2 shown]
	s_movk_i32 s2, 0xfc
	v_accvgpr_write_b32 a73, v119
	v_accvgpr_write_b32 a74, v120
	;; [unrolled: 1-line block ×3, first 2 shown]
	v_lshlrev_b32_e32 v11, 1, v132
	s_waitcnt lgkmcnt(0)
	s_barrier
	v_lshlrev_b32_e32 v7, 1, v10
	v_lshlrev_b32_e32 v6, 1, v140
	;; [unrolled: 1-line block ×4, first 2 shown]
	s_movk_i32 s3, 0x5fc
	s_mov_b32 s13, 0xbfebb67a
	s_movk_i32 s14, 0x60
	v_cmp_gt_u16_e32 vcc, s14, v8
	s_movk_i32 s15, 0xab
	s_waitcnt vmcnt(0)
	v_mul_f64 v[88:89], v[14:15], v[74:75]
	v_fma_f64 v[88:89], v[12:13], v[72:73], -v[88:89]
	v_mul_f64 v[90:91], v[12:13], v[74:75]
	v_mul_f64 v[12:13], v[26:27], v[74:75]
	v_fma_f64 v[92:93], v[24:25], v[72:73], -v[12:13]
	v_mul_f64 v[12:13], v[30:31], v[74:75]
	v_fma_f64 v[96:97], v[28:29], v[72:73], -v[12:13]
	;; [unrolled: 2-line block ×7, first 2 shown]
	v_mul_f64 v[12:13], v[86:87], v[74:75]
	v_fmac_f64_e32 v[90:91], v[14:15], v[72:73]
	v_mul_f64 v[94:95], v[24:25], v[74:75]
	v_fma_f64 v[120:121], v[84:85], v[72:73], -v[12:13]
	v_add_f64 v[12:13], v[16:17], -v[88:89]
	v_and_or_b32 v88, v0, s2, v124
	v_fmac_f64_e32 v[94:95], v[26:27], v[72:73]
	v_add_f64 v[14:15], v[18:19], -v[90:91]
	v_lshl_add_u32 v88, v88, 4, v137
	s_movk_i32 s2, 0x1fc
	v_mul_f64 v[98:99], v[28:29], v[74:75]
	v_fma_f64 v[16:17], v[16:17], 2.0, -v[12:13]
	v_add_f64 v[24:25], v[20:21], -v[92:93]
	v_add_f64 v[26:27], v[22:23], -v[94:95]
	ds_write_b128 v88, v[12:15] offset:32
	v_and_or_b32 v12, v11, s2, v124
	v_fmac_f64_e32 v[98:99], v[30:31], v[72:73]
	v_fma_f64 v[18:19], v[18:19], 2.0, -v[14:15]
	v_fma_f64 v[20:21], v[20:21], 2.0, -v[24:25]
	;; [unrolled: 1-line block ×3, first 2 shown]
	v_lshl_add_u32 v12, v12, 4, v137
	s_movk_i32 s2, 0x3fc
	v_mul_f64 v[102:103], v[40:41], v[74:75]
	v_add_f64 v[28:29], v[32:33], -v[96:97]
	v_add_f64 v[30:31], v[34:35], -v[98:99]
	ds_write_b128 v88, v[16:19]
	ds_write_b128 v12, v[20:23]
	v_accvgpr_write_b32 a85, v12
	ds_write_b128 v12, v[24:27] offset:32
	v_and_or_b32 v12, v7, s2, v124
	v_fmac_f64_e32 v[102:103], v[42:43], v[72:73]
	v_fma_f64 v[32:33], v[32:33], 2.0, -v[28:29]
	v_fma_f64 v[34:35], v[34:35], 2.0, -v[30:31]
	v_lshl_add_u32 v12, v12, 4, v137
	v_mul_f64 v[106:107], v[44:45], v[74:75]
	v_add_f64 v[40:41], v[36:37], -v[100:101]
	v_add_f64 v[42:43], v[38:39], -v[102:103]
	ds_write_b128 v12, v[32:35]
	v_accvgpr_write_b32 a86, v12
	ds_write_b128 v12, v[28:31] offset:32
	v_and_or_b32 v12, v6, s2, v124
	v_fmac_f64_e32 v[106:107], v[46:47], v[72:73]
	v_fma_f64 v[36:37], v[36:37], 2.0, -v[40:41]
	v_fma_f64 v[38:39], v[38:39], 2.0, -v[42:43]
	v_lshl_add_u32 v12, v12, 4, v137
	s_movk_i32 s2, 0x7fc
	v_mul_f64 v[110:111], v[56:57], v[74:75]
	v_add_f64 v[44:45], v[48:49], -v[104:105]
	v_add_f64 v[46:47], v[50:51], -v[106:107]
	ds_write_b128 v12, v[36:39]
	v_accvgpr_write_b32 a87, v12
	ds_write_b128 v12, v[40:43] offset:32
	v_and_or_b32 v12, v5, s2, v124
	v_fmac_f64_e32 v[110:111], v[58:59], v[72:73]
	v_fma_f64 v[48:49], v[48:49], 2.0, -v[44:45]
	v_fma_f64 v[50:51], v[50:51], 2.0, -v[46:47]
	v_lshl_add_u32 v12, v12, 4, v137
	v_mul_f64 v[114:115], v[60:61], v[74:75]
	v_add_f64 v[56:57], v[52:53], -v[108:109]
	v_add_f64 v[58:59], v[54:55], -v[110:111]
	ds_write_b128 v12, v[48:51]
	v_accvgpr_write_b32 a88, v12
	ds_write_b128 v12, v[44:47] offset:32
	v_and_or_b32 v12, v4, s3, v124
	v_fmac_f64_e32 v[114:115], v[62:63], v[72:73]
	v_fma_f64 v[52:53], v[52:53], 2.0, -v[56:57]
	v_fma_f64 v[54:55], v[54:55], 2.0, -v[58:59]
	v_lshl_add_u32 v12, v12, 4, v137
	v_mul_f64 v[118:119], v[80:81], v[74:75]
	v_add_f64 v[60:61], v[64:65], -v[112:113]
	v_add_f64 v[62:63], v[66:67], -v[114:115]
	ds_write_b128 v12, v[52:55]
	v_accvgpr_write_b32 a89, v12
	ds_write_b128 v12, v[56:59] offset:32
	v_and_or_b32 v12, v1, s2, v124
	v_fmac_f64_e32 v[118:119], v[82:83], v[72:73]
	v_fma_f64 v[64:65], v[64:65], 2.0, -v[60:61]
	v_fma_f64 v[66:67], v[66:67], 2.0, -v[62:63]
	v_lshl_add_u32 v12, v12, 4, v137
	v_mul_f64 v[122:123], v[84:85], v[74:75]
	v_add_f64 v[80:81], v[68:69], -v[116:117]
	v_add_f64 v[82:83], v[70:71], -v[118:119]
	ds_write_b128 v12, v[64:67]
	v_accvgpr_write_b32 a90, v12
	ds_write_b128 v12, v[60:63] offset:32
	v_and_or_b32 v12, v2, s2, v124
	v_fmac_f64_e32 v[122:123], v[86:87], v[72:73]
	v_fma_f64 v[68:69], v[68:69], 2.0, -v[80:81]
	v_fma_f64 v[70:71], v[70:71], 2.0, -v[82:83]
	v_lshl_add_u32 v12, v12, 4, v137
	v_add_f64 v[84:85], v[76:77], -v[120:121]
	v_add_f64 v[86:87], v[78:79], -v[122:123]
	ds_write_b128 v12, v[68:71]
	v_accvgpr_write_b32 a91, v12
	ds_write_b128 v12, v[80:83] offset:32
	v_and_or_b32 v12, v3, s2, v124
	v_fma_f64 v[76:77], v[76:77], 2.0, -v[84:85]
	v_fma_f64 v[78:79], v[78:79], 2.0, -v[86:87]
	v_lshl_add_u32 v12, v12, 4, v137
	ds_write_b128 v12, v[76:79]
	v_accvgpr_write_b32 a92, v12
	ds_write_b128 v12, v[84:87] offset:32
	v_lshlrev_b32_e32 v12, 4, v128
	s_waitcnt lgkmcnt(0)
	s_barrier
	global_load_dwordx4 v[76:79], v12, s[10:11] offset:32
	v_accvgpr_write_b32 a84, v88
	ds_read_b128 v[12:15], v136 offset:16128
	ds_read_b128 v[16:19], v136
	ds_read_b128 v[20:23], v136 offset:1792
	ds_read_b128 v[24:27], v136 offset:17920
	;; [unrolled: 1-line block ×16, first 2 shown]
	s_movk_i32 s2, 0xf8
	s_waitcnt lgkmcnt(0)
	s_barrier
	s_movk_i32 s3, 0x5f8
	s_waitcnt vmcnt(0)
	v_mul_f64 v[92:93], v[14:15], v[78:79]
	v_fma_f64 v[92:93], v[12:13], v[76:77], -v[92:93]
	v_mul_f64 v[94:95], v[12:13], v[78:79]
	v_mul_f64 v[12:13], v[26:27], v[78:79]
	v_fma_f64 v[96:97], v[24:25], v[76:77], -v[12:13]
	v_mul_f64 v[12:13], v[30:31], v[78:79]
	v_fma_f64 v[100:101], v[28:29], v[76:77], -v[12:13]
	;; [unrolled: 2-line block ×7, first 2 shown]
	v_mul_f64 v[12:13], v[90:91], v[78:79]
	v_fmac_f64_e32 v[94:95], v[14:15], v[76:77]
	v_mul_f64 v[98:99], v[24:25], v[78:79]
	v_fma_f64 v[124:125], v[88:89], v[76:77], -v[12:13]
	v_add_f64 v[12:13], v[16:17], -v[92:93]
	v_and_or_b32 v92, v0, s2, v128
	v_fmac_f64_e32 v[98:99], v[26:27], v[76:77]
	v_add_f64 v[14:15], v[18:19], -v[94:95]
	v_lshl_add_u32 v92, v92, 4, v137
	s_movk_i32 s2, 0x1f8
	v_mul_f64 v[102:103], v[28:29], v[78:79]
	v_fma_f64 v[16:17], v[16:17], 2.0, -v[12:13]
	v_add_f64 v[24:25], v[20:21], -v[96:97]
	v_add_f64 v[26:27], v[22:23], -v[98:99]
	ds_write_b128 v92, v[12:15] offset:64
	v_and_or_b32 v12, v11, s2, v128
	v_fmac_f64_e32 v[102:103], v[30:31], v[76:77]
	v_fma_f64 v[18:19], v[18:19], 2.0, -v[14:15]
	v_fma_f64 v[20:21], v[20:21], 2.0, -v[24:25]
	;; [unrolled: 1-line block ×3, first 2 shown]
	v_lshl_add_u32 v12, v12, 4, v137
	s_movk_i32 s2, 0x3f8
	v_mul_f64 v[106:107], v[40:41], v[78:79]
	v_add_f64 v[28:29], v[32:33], -v[100:101]
	v_add_f64 v[30:31], v[34:35], -v[102:103]
	ds_write_b128 v92, v[16:19]
	ds_write_b128 v12, v[20:23]
	v_accvgpr_write_b32 a94, v12
	ds_write_b128 v12, v[24:27] offset:64
	v_and_or_b32 v12, v7, s2, v128
	v_fmac_f64_e32 v[106:107], v[42:43], v[76:77]
	v_fma_f64 v[32:33], v[32:33], 2.0, -v[28:29]
	v_fma_f64 v[34:35], v[34:35], 2.0, -v[30:31]
	v_lshl_add_u32 v12, v12, 4, v137
	v_mul_f64 v[110:111], v[44:45], v[78:79]
	v_add_f64 v[40:41], v[36:37], -v[104:105]
	v_add_f64 v[42:43], v[38:39], -v[106:107]
	ds_write_b128 v12, v[32:35]
	v_accvgpr_write_b32 a95, v12
	ds_write_b128 v12, v[28:31] offset:64
	v_and_or_b32 v12, v6, s2, v128
	v_fmac_f64_e32 v[110:111], v[46:47], v[76:77]
	v_fma_f64 v[36:37], v[36:37], 2.0, -v[40:41]
	v_fma_f64 v[38:39], v[38:39], 2.0, -v[42:43]
	v_lshl_add_u32 v12, v12, 4, v137
	s_movk_i32 s2, 0x7f8
	v_mul_f64 v[114:115], v[56:57], v[78:79]
	v_add_f64 v[44:45], v[48:49], -v[108:109]
	v_add_f64 v[46:47], v[50:51], -v[110:111]
	ds_write_b128 v12, v[36:39]
	v_accvgpr_write_b32 a96, v12
	ds_write_b128 v12, v[40:43] offset:64
	v_and_or_b32 v12, v5, s2, v128
	v_fmac_f64_e32 v[114:115], v[58:59], v[76:77]
	v_fma_f64 v[48:49], v[48:49], 2.0, -v[44:45]
	v_fma_f64 v[50:51], v[50:51], 2.0, -v[46:47]
	v_lshl_add_u32 v12, v12, 4, v137
	v_mul_f64 v[118:119], v[60:61], v[78:79]
	v_add_f64 v[56:57], v[52:53], -v[112:113]
	v_add_f64 v[58:59], v[54:55], -v[114:115]
	ds_write_b128 v12, v[48:51]
	v_accvgpr_write_b32 a97, v12
	ds_write_b128 v12, v[44:47] offset:64
	v_and_or_b32 v12, v4, s3, v128
	v_fmac_f64_e32 v[118:119], v[62:63], v[76:77]
	v_fma_f64 v[52:53], v[52:53], 2.0, -v[56:57]
	v_fma_f64 v[54:55], v[54:55], 2.0, -v[58:59]
	v_lshl_add_u32 v12, v12, 4, v137
	v_mul_f64 v[122:123], v[84:85], v[78:79]
	v_add_f64 v[60:61], v[64:65], -v[116:117]
	v_add_f64 v[62:63], v[66:67], -v[118:119]
	ds_write_b128 v12, v[52:55]
	v_accvgpr_write_b32 a98, v12
	ds_write_b128 v12, v[56:59] offset:64
	v_and_or_b32 v12, v1, s2, v128
	v_fmac_f64_e32 v[122:123], v[86:87], v[76:77]
	v_fma_f64 v[64:65], v[64:65], 2.0, -v[60:61]
	v_fma_f64 v[66:67], v[66:67], 2.0, -v[62:63]
	v_lshl_add_u32 v12, v12, 4, v137
	v_mul_f64 v[126:127], v[88:89], v[78:79]
	v_add_f64 v[84:85], v[68:69], -v[120:121]
	v_add_f64 v[86:87], v[70:71], -v[122:123]
	ds_write_b128 v12, v[64:67]
	v_accvgpr_write_b32 a99, v12
	ds_write_b128 v12, v[60:63] offset:64
	v_and_or_b32 v12, v2, s2, v128
	v_fmac_f64_e32 v[126:127], v[90:91], v[76:77]
	v_fma_f64 v[68:69], v[68:69], 2.0, -v[84:85]
	v_fma_f64 v[70:71], v[70:71], 2.0, -v[86:87]
	v_lshl_add_u32 v12, v12, 4, v137
	v_add_f64 v[88:89], v[80:81], -v[124:125]
	v_add_f64 v[90:91], v[82:83], -v[126:127]
	ds_write_b128 v12, v[68:71]
	v_accvgpr_write_b32 a100, v12
	ds_write_b128 v12, v[84:87] offset:64
	v_and_or_b32 v12, v3, s2, v128
	v_fma_f64 v[80:81], v[80:81], 2.0, -v[88:89]
	v_fma_f64 v[82:83], v[82:83], 2.0, -v[90:91]
	v_lshl_add_u32 v12, v12, 4, v137
	ds_write_b128 v12, v[80:83]
	v_accvgpr_write_b32 a101, v12
	ds_write_b128 v12, v[88:91] offset:64
	v_lshlrev_b32_e32 v12, 4, v133
	s_waitcnt lgkmcnt(0)
	s_barrier
	global_load_dwordx4 v[80:83], v12, s[10:11] offset:96
	v_accvgpr_write_b32 a93, v92
	ds_read_b128 v[12:15], v136 offset:16128
	ds_read_b128 v[16:19], v136
	ds_read_b128 v[20:23], v136 offset:1792
	ds_read_b128 v[24:27], v136 offset:17920
	ds_read_b128 v[28:31], v136 offset:19712
	ds_read_b128 v[32:35], v136 offset:3584
	ds_read_b128 v[36:39], v136 offset:5376
	ds_read_b128 v[40:43], v136 offset:21504
	ds_read_b128 v[44:47], v136 offset:23296
	ds_read_b128 v[48:51], v136 offset:7168
	ds_read_b128 v[52:55], v136 offset:8960
	ds_read_b128 v[56:59], v136 offset:25088
	ds_read_b128 v[60:63], v136 offset:26880
	ds_read_b128 v[64:67], v136 offset:10752
	ds_read_b128 v[68:71], v136 offset:12544
	ds_read_b128 v[84:87], v136 offset:14336
	ds_read_b128 v[88:91], v136 offset:28672
	ds_read_b128 v[92:95], v136 offset:30464
	s_movk_i32 s2, 0xf0
	s_waitcnt lgkmcnt(0)
	s_barrier
	s_movk_i32 s3, 0x5f0
	s_waitcnt vmcnt(0)
	v_mul_f64 v[96:97], v[14:15], v[82:83]
	v_fma_f64 v[96:97], v[12:13], v[80:81], -v[96:97]
	v_mul_f64 v[98:99], v[12:13], v[82:83]
	v_mul_f64 v[12:13], v[26:27], v[82:83]
	v_fma_f64 v[100:101], v[24:25], v[80:81], -v[12:13]
	v_mul_f64 v[12:13], v[30:31], v[82:83]
	v_fma_f64 v[104:105], v[28:29], v[80:81], -v[12:13]
	;; [unrolled: 2-line block ×7, first 2 shown]
	v_mul_f64 v[12:13], v[94:95], v[82:83]
	v_fmac_f64_e32 v[98:99], v[14:15], v[80:81]
	v_mul_f64 v[102:103], v[24:25], v[82:83]
	v_fma_f64 v[128:129], v[92:93], v[80:81], -v[12:13]
	v_add_f64 v[12:13], v[16:17], -v[96:97]
	v_and_or_b32 v96, v0, s2, v133
	v_fmac_f64_e32 v[102:103], v[26:27], v[80:81]
	v_add_f64 v[14:15], v[18:19], -v[98:99]
	v_lshl_add_u32 v96, v96, 4, v137
	s_movk_i32 s2, 0x1f0
	v_mul_f64 v[106:107], v[28:29], v[82:83]
	v_fma_f64 v[16:17], v[16:17], 2.0, -v[12:13]
	v_add_f64 v[24:25], v[20:21], -v[100:101]
	v_add_f64 v[26:27], v[22:23], -v[102:103]
	ds_write_b128 v96, v[12:15] offset:128
	v_and_or_b32 v12, v11, s2, v133
	v_fmac_f64_e32 v[106:107], v[30:31], v[80:81]
	v_fma_f64 v[18:19], v[18:19], 2.0, -v[14:15]
	v_fma_f64 v[20:21], v[20:21], 2.0, -v[24:25]
	v_fma_f64 v[22:23], v[22:23], 2.0, -v[26:27]
	v_lshl_add_u32 v12, v12, 4, v137
	s_movk_i32 s2, 0x3f0
	v_mul_f64 v[110:111], v[40:41], v[82:83]
	v_add_f64 v[28:29], v[32:33], -v[104:105]
	v_add_f64 v[30:31], v[34:35], -v[106:107]
	ds_write_b128 v96, v[16:19]
	ds_write_b128 v12, v[20:23]
	v_accvgpr_write_b32 a103, v12
	ds_write_b128 v12, v[24:27] offset:128
	v_and_or_b32 v12, v7, s2, v133
	v_fmac_f64_e32 v[110:111], v[42:43], v[80:81]
	v_fma_f64 v[32:33], v[32:33], 2.0, -v[28:29]
	v_fma_f64 v[34:35], v[34:35], 2.0, -v[30:31]
	v_lshl_add_u32 v12, v12, 4, v137
	v_mul_f64 v[114:115], v[44:45], v[82:83]
	v_add_f64 v[40:41], v[36:37], -v[108:109]
	v_add_f64 v[42:43], v[38:39], -v[110:111]
	ds_write_b128 v12, v[32:35]
	v_accvgpr_write_b32 a104, v12
	ds_write_b128 v12, v[28:31] offset:128
	v_and_or_b32 v12, v6, s2, v133
	v_fmac_f64_e32 v[114:115], v[46:47], v[80:81]
	v_fma_f64 v[36:37], v[36:37], 2.0, -v[40:41]
	v_fma_f64 v[38:39], v[38:39], 2.0, -v[42:43]
	v_lshl_add_u32 v12, v12, 4, v137
	s_movk_i32 s2, 0x7f0
	v_mul_f64 v[118:119], v[56:57], v[82:83]
	v_add_f64 v[44:45], v[48:49], -v[112:113]
	v_add_f64 v[46:47], v[50:51], -v[114:115]
	ds_write_b128 v12, v[36:39]
	v_accvgpr_write_b32 a105, v12
	ds_write_b128 v12, v[40:43] offset:128
	v_and_or_b32 v12, v5, s2, v133
	v_fmac_f64_e32 v[118:119], v[58:59], v[80:81]
	v_fma_f64 v[48:49], v[48:49], 2.0, -v[44:45]
	v_fma_f64 v[50:51], v[50:51], 2.0, -v[46:47]
	v_lshl_add_u32 v12, v12, 4, v137
	v_mul_f64 v[122:123], v[60:61], v[82:83]
	v_add_f64 v[56:57], v[52:53], -v[116:117]
	v_add_f64 v[58:59], v[54:55], -v[118:119]
	ds_write_b128 v12, v[48:51]
	v_accvgpr_write_b32 a106, v12
	ds_write_b128 v12, v[44:47] offset:128
	v_and_or_b32 v12, v4, s3, v133
	v_fmac_f64_e32 v[122:123], v[62:63], v[80:81]
	v_fma_f64 v[52:53], v[52:53], 2.0, -v[56:57]
	v_fma_f64 v[54:55], v[54:55], 2.0, -v[58:59]
	v_lshl_add_u32 v12, v12, 4, v137
	;; [unrolled: 11-line block ×4, first 2 shown]
	v_add_f64 v[92:93], v[84:85], -v[128:129]
	v_add_f64 v[94:95], v[86:87], -v[130:131]
	ds_write_b128 v12, v[68:71]
	v_accvgpr_write_b32 a109, v12
	ds_write_b128 v12, v[88:91] offset:128
	v_and_or_b32 v12, v3, s2, v133
	v_fma_f64 v[84:85], v[84:85], 2.0, -v[92:93]
	v_fma_f64 v[86:87], v[86:87], 2.0, -v[94:95]
	v_lshl_add_u32 v12, v12, 4, v137
	v_and_b32_e32 v133, 15, v8
	ds_write_b128 v12, v[84:87]
	v_accvgpr_write_b32 a110, v12
	ds_write_b128 v12, v[92:95] offset:128
	v_lshlrev_b32_e32 v12, 4, v133
	s_waitcnt lgkmcnt(0)
	s_barrier
	global_load_dwordx4 v[84:87], v12, s[10:11] offset:224
	v_accvgpr_write_b32 a102, v96
	ds_read_b128 v[12:15], v136 offset:16128
	ds_read_b128 v[16:19], v136
	ds_read_b128 v[20:23], v136 offset:1792
	ds_read_b128 v[24:27], v136 offset:17920
	;; [unrolled: 1-line block ×16, first 2 shown]
	s_movk_i32 s3, 0xe0
	v_and_or_b32 v0, v0, s3, v133
	v_lshl_add_u32 v0, v0, 4, v137
	s_movk_i32 s3, 0x1e0
	s_waitcnt lgkmcnt(0)
	s_barrier
	v_accvgpr_write_b32 a111, v0
	s_movk_i32 s2, 0x7e0
	s_waitcnt vmcnt(0)
	v_mul_f64 v[100:101], v[14:15], v[86:87]
	v_fma_f64 v[100:101], v[12:13], v[84:85], -v[100:101]
	v_mul_f64 v[102:103], v[12:13], v[86:87]
	v_mul_f64 v[12:13], v[26:27], v[86:87]
	v_fma_f64 v[104:105], v[24:25], v[84:85], -v[12:13]
	v_mul_f64 v[12:13], v[30:31], v[86:87]
	v_fma_f64 v[108:109], v[28:29], v[84:85], -v[12:13]
	;; [unrolled: 2-line block ×6, first 2 shown]
	v_mul_f64 v[12:13], v[94:95], v[86:87]
	v_fmac_f64_e32 v[102:103], v[14:15], v[84:85]
	v_fma_f64 v[128:129], v[92:93], v[84:85], -v[12:13]
	v_mul_f64 v[12:13], v[98:99], v[86:87]
	v_mul_f64 v[106:107], v[24:25], v[86:87]
	v_fma_f64 v[134:135], v[96:97], v[84:85], -v[12:13]
	v_add_f64 v[12:13], v[16:17], -v[100:101]
	v_add_f64 v[14:15], v[18:19], -v[102:103]
	v_fmac_f64_e32 v[106:107], v[26:27], v[84:85]
	v_fma_f64 v[16:17], v[16:17], 2.0, -v[12:13]
	v_fma_f64 v[18:19], v[18:19], 2.0, -v[14:15]
	v_mul_f64 v[110:111], v[28:29], v[86:87]
	v_add_f64 v[24:25], v[20:21], -v[104:105]
	v_add_f64 v[26:27], v[22:23], -v[106:107]
	ds_write_b128 v0, v[16:19]
	ds_write_b128 v0, v[12:15] offset:256
	v_and_or_b32 v0, v11, s3, v133
	v_fmac_f64_e32 v[110:111], v[30:31], v[84:85]
	v_fma_f64 v[20:21], v[20:21], 2.0, -v[24:25]
	v_fma_f64 v[22:23], v[22:23], 2.0, -v[26:27]
	v_lshl_add_u32 v0, v0, 4, v137
	s_movk_i32 s3, 0x3e0
	v_mul_f64 v[114:115], v[40:41], v[86:87]
	v_add_f64 v[28:29], v[32:33], -v[108:109]
	v_add_f64 v[30:31], v[34:35], -v[110:111]
	ds_write_b128 v0, v[20:23]
	v_accvgpr_write_b32 a116, v0
	ds_write_b128 v0, v[24:27] offset:256
	v_and_or_b32 v0, v7, s3, v133
	v_fmac_f64_e32 v[114:115], v[42:43], v[84:85]
	v_fma_f64 v[32:33], v[32:33], 2.0, -v[28:29]
	v_fma_f64 v[34:35], v[34:35], 2.0, -v[30:31]
	v_lshl_add_u32 v0, v0, 4, v137
	v_mul_f64 v[118:119], v[44:45], v[86:87]
	v_add_f64 v[40:41], v[36:37], -v[112:113]
	v_add_f64 v[42:43], v[38:39], -v[114:115]
	ds_write_b128 v0, v[32:35]
	v_accvgpr_write_b32 a117, v0
	ds_write_b128 v0, v[28:31] offset:256
	v_and_or_b32 v0, v6, s3, v133
	v_fmac_f64_e32 v[118:119], v[46:47], v[84:85]
	v_fma_f64 v[36:37], v[36:37], 2.0, -v[40:41]
	v_fma_f64 v[38:39], v[38:39], 2.0, -v[42:43]
	v_lshl_add_u32 v0, v0, 4, v137
	;; [unrolled: 11-line block ×3, first 2 shown]
	s_movk_i32 s3, 0x5e0
	v_mul_f64 v[126:127], v[60:61], v[86:87]
	v_add_f64 v[56:57], v[52:53], -v[120:121]
	v_add_f64 v[58:59], v[54:55], -v[122:123]
	ds_write_b128 v0, v[48:51]
	v_accvgpr_write_b32 a119, v0
	ds_write_b128 v0, v[44:47] offset:256
	v_and_or_b32 v0, v4, s3, v133
	v_fmac_f64_e32 v[126:127], v[62:63], v[84:85]
	v_fma_f64 v[52:53], v[52:53], 2.0, -v[56:57]
	v_fma_f64 v[54:55], v[54:55], 2.0, -v[58:59]
	v_lshl_add_u32 v0, v0, 4, v137
	v_mul_f64 v[130:131], v[92:93], v[86:87]
	v_add_f64 v[60:61], v[64:65], -v[124:125]
	v_add_f64 v[62:63], v[66:67], -v[126:127]
	ds_write_b128 v0, v[52:55]
	v_accvgpr_write_b32 a120, v0
	ds_write_b128 v0, v[56:59] offset:256
	v_and_or_b32 v0, v1, s2, v133
	v_fmac_f64_e32 v[130:131], v[94:95], v[84:85]
	v_fma_f64 v[64:65], v[64:65], 2.0, -v[60:61]
	v_fma_f64 v[66:67], v[66:67], 2.0, -v[62:63]
	v_lshl_add_u32 v0, v0, 4, v137
	;; [unrolled: 11-line block ×3, first 2 shown]
	v_add_f64 v[96:97], v[88:89], -v[134:135]
	v_add_f64 v[98:99], v[90:91], -v[138:139]
	ds_write_b128 v0, v[68:71]
	v_accvgpr_write_b32 a122, v0
	ds_write_b128 v0, v[92:95] offset:256
	v_and_or_b32 v0, v3, s2, v133
	v_fma_f64 v[88:89], v[88:89], 2.0, -v[96:97]
	v_fma_f64 v[90:91], v[90:91], 2.0, -v[98:99]
	v_lshl_add_u32 v0, v0, 4, v137
	v_and_b32_e32 v11, 31, v8
	ds_write_b128 v0, v[88:91]
	v_accvgpr_write_b32 a123, v0
	ds_write_b128 v0, v[96:99] offset:256
	v_lshlrev_b32_e32 v0, 5, v11
	s_waitcnt lgkmcnt(0)
	s_barrier
	global_load_dwordx4 v[92:95], v0, s[10:11] offset:480
	global_load_dwordx4 v[88:91], v0, s[10:11] offset:496
	v_and_b32_e32 v54, 31, v156
	v_and_b32_e32 v56, 31, v132
	v_lshlrev_b32_e32 v1, 5, v54
	v_lshlrev_b32_e32 v0, 5, v56
	global_load_dwordx4 v[124:127], v1, s[10:11] offset:480
	global_load_dwordx2 v[34:35], v0, s[10:11] offset:480
	global_load_dwordx4 v[100:103], v1, s[10:11] offset:496
	global_load_dwordx4 v[104:107], v1, s[10:11] offset:488
	v_and_b32_e32 v55, 31, v140
	v_lshlrev_b32_e32 v0, 5, v55
	global_load_dwordx4 v[108:111], v0, s[10:11] offset:480
	global_load_dwordx4 v[112:115], v0, s[10:11] offset:496
	global_load_dwordx2 v[142:143], v1, s[10:11] offset:504
	ds_read_b128 v[128:131], v136
	ds_read_b128 v[0:3], v136 offset:1792
	ds_read_b128 v[4:7], v136 offset:10752
	;; [unrolled: 1-line block ×13, first 2 shown]
	v_lshrrev_b32_e32 v57, 5, v8
	v_mul_u32_u24_e32 v57, 0x60, v57
	v_or_b32_e32 v57, v57, v11
	v_lshl_add_u32 v57, v57, 4, v137
	s_mov_b32 s2, 0xe8584caa
	s_mov_b32 s3, 0x3febb67a
	;; [unrolled: 1-line block ×3, first 2 shown]
	v_accvgpr_write_b32 a128, v57
	s_waitcnt vmcnt(8) lgkmcnt(11)
	v_mul_f64 v[28:29], v[6:7], v[94:95]
	v_fma_f64 v[52:53], v[4:5], v[92:93], -v[28:29]
	v_mul_f64 v[70:71], v[4:5], v[94:95]
	s_waitcnt vmcnt(7) lgkmcnt(9)
	v_mul_f64 v[4:5], v[18:19], v[90:91]
	v_fma_f64 v[134:135], v[16:17], v[88:89], -v[4:5]
	s_waitcnt vmcnt(6)
	v_mul_f64 v[4:5], v[14:15], v[126:127]
	s_waitcnt vmcnt(5)
	v_fma_f64 v[42:43], v[12:13], v[34:35], -v[4:5]
	s_waitcnt vmcnt(4) lgkmcnt(8)
	v_mul_f64 v[4:5], v[22:23], v[102:103]
	v_mul_f64 v[46:47], v[12:13], v[126:127]
	v_accvgpr_write_b32 a125, v35
	s_waitcnt vmcnt(3)
	v_fma_f64 v[48:49], v[20:21], v[106:107], -v[4:5]
	s_waitcnt lgkmcnt(7)
	v_mul_f64 v[4:5], v[26:27], v[94:95]
	v_accvgpr_write_b32 a124, v34
	v_fmac_f64_e32 v[46:47], v[14:15], v[34:35]
	v_fma_f64 v[34:35], v[24:25], v[92:93], -v[4:5]
	s_waitcnt lgkmcnt(5)
	v_mul_f64 v[4:5], v[60:61], v[90:91]
	v_mul_f64 v[38:39], v[24:25], v[94:95]
	v_fma_f64 v[40:41], v[58:59], v[88:89], -v[4:5]
	s_waitcnt vmcnt(2)
	v_mul_f64 v[4:5], v[32:33], v[110:111]
	v_fmac_f64_e32 v[38:39], v[26:27], v[92:93]
	v_fma_f64 v[26:27], v[30:31], v[108:109], -v[4:5]
	v_mul_f64 v[30:31], v[30:31], v[110:111]
	s_waitcnt vmcnt(1) lgkmcnt(4)
	v_mul_f64 v[4:5], v[64:65], v[114:115]
	v_mul_f64 v[138:139], v[16:17], v[90:91]
	v_fmac_f64_e32 v[30:31], v[32:33], v[108:109]
	v_fma_f64 v[32:33], v[62:63], v[112:113], -v[4:5]
	s_waitcnt lgkmcnt(3)
	v_mul_f64 v[4:5], v[68:69], v[94:95]
	v_fmac_f64_e32 v[138:139], v[18:19], v[88:89]
	v_fma_f64 v[18:19], v[66:67], v[92:93], -v[4:5]
	s_waitcnt lgkmcnt(1)
	v_mul_f64 v[4:5], v[118:119], v[90:91]
	v_fma_f64 v[24:25], v[116:117], v[88:89], -v[4:5]
	v_mul_f64 v[4:5], v[98:99], v[104:105]
	v_fma_f64 v[12:13], v[96:97], v[124:125], -v[4:5]
	s_waitcnt vmcnt(0) lgkmcnt(0)
	v_mul_f64 v[4:5], v[122:123], v[142:143]
	v_fmac_f64_e32 v[70:71], v[6:7], v[92:93]
	v_fma_f64 v[16:17], v[120:121], v[100:101], -v[4:5]
	v_add_f64 v[4:5], v[128:129], v[52:53]
	v_mul_f64 v[44:45], v[58:59], v[90:91]
	v_add_f64 v[58:59], v[4:5], v[134:135]
	v_add_f64 v[4:5], v[130:131], v[70:71]
	v_mul_f64 v[50:51], v[20:21], v[102:103]
	v_fmac_f64_e32 v[44:45], v[60:61], v[88:89]
	v_mul_f64 v[28:29], v[116:117], v[90:91]
	v_mul_f64 v[14:15], v[96:97], v[104:105]
	v_accvgpr_write_b32 a112, v124
	v_mul_f64 v[20:21], v[120:121], v[142:143]
	v_add_f64 v[60:61], v[4:5], v[138:139]
	v_fmac_f64_e32 v[28:29], v[118:119], v[88:89]
	v_accvgpr_write_b32 a113, v125
	v_accvgpr_write_b32 a114, v126
	;; [unrolled: 1-line block ×3, first 2 shown]
	v_fmac_f64_e32 v[14:15], v[98:99], v[124:125]
	v_fmac_f64_e32 v[20:21], v[122:123], v[100:101]
	ds_read_b128 v[124:127], v136 offset:3584
	ds_read_b128 v[120:123], v136 offset:5376
	;; [unrolled: 1-line block ×4, first 2 shown]
	s_waitcnt lgkmcnt(0)
	s_barrier
	ds_write_b128 v57, v[58:61]
	v_add_f64 v[58:59], v[52:53], v[134:135]
	v_fmac_f64_e32 v[128:129], -0.5, v[58:59]
	v_add_f64 v[58:59], v[70:71], v[138:139]
	v_mul_f64 v[36:37], v[62:63], v[114:115]
	v_add_f64 v[62:63], v[70:71], -v[138:139]
	v_fmac_f64_e32 v[130:131], -0.5, v[58:59]
	v_add_f64 v[52:53], v[52:53], -v[134:135]
	v_fmac_f64_e32 v[50:51], v[22:23], v[106:107]
	v_fma_f64 v[58:59], s[2:3], v[62:63], v[128:129]
	v_fma_f64 v[60:61], s[12:13], v[52:53], v[130:131]
	v_fmac_f64_e32 v[130:131], s[2:3], v[52:53]
	v_add_f64 v[52:53], v[0:1], v[42:43]
	ds_write_b128 v57, v[58:61] offset:512
	v_fmac_f64_e32 v[128:129], s[12:13], v[62:63]
	v_add_f64 v[58:59], v[42:43], v[48:49]
	v_add_f64 v[60:61], v[46:47], -v[50:51]
	v_add_f64 v[62:63], v[52:53], v[48:49]
	v_add_f64 v[52:53], v[2:3], v[46:47]
	;; [unrolled: 1-line block ×3, first 2 shown]
	v_fmac_f64_e32 v[0:1], -0.5, v[58:59]
	v_fmac_f64_e32 v[2:3], -0.5, v[46:47]
	v_add_f64 v[42:43], v[42:43], -v[48:49]
	v_fma_f64 v[58:59], s[2:3], v[60:61], v[0:1]
	v_fmac_f64_e32 v[0:1], s[12:13], v[60:61]
	v_fma_f64 v[60:61], s[12:13], v[42:43], v[2:3]
	v_fmac_f64_e32 v[2:3], s[2:3], v[42:43]
	v_add_f64 v[42:43], v[34:35], v[40:41]
	v_add_f64 v[46:47], v[124:125], v[34:35]
	v_fmac_f64_e32 v[124:125], -0.5, v[42:43]
	v_add_f64 v[48:49], v[38:39], -v[44:45]
	v_fma_f64 v[42:43], s[2:3], v[48:49], v[124:125]
	v_fmac_f64_e32 v[124:125], s[12:13], v[48:49]
	v_add_f64 v[48:49], v[126:127], v[38:39]
	v_add_f64 v[38:39], v[38:39], v[44:45]
	v_fmac_f64_e32 v[126:127], -0.5, v[38:39]
	v_add_f64 v[34:35], v[34:35], -v[40:41]
	v_fmac_f64_e32 v[36:37], v[64:65], v[112:113]
	v_add_f64 v[48:49], v[48:49], v[44:45]
	v_fma_f64 v[44:45], s[12:13], v[34:35], v[126:127]
	v_fmac_f64_e32 v[126:127], s[2:3], v[34:35]
	v_add_f64 v[34:35], v[26:27], v[32:33]
	v_add_f64 v[46:47], v[46:47], v[40:41]
	;; [unrolled: 1-line block ×3, first 2 shown]
	v_fmac_f64_e32 v[120:121], -0.5, v[34:35]
	v_add_f64 v[40:41], v[30:31], -v[36:37]
	v_fma_f64 v[34:35], s[2:3], v[40:41], v[120:121]
	v_fmac_f64_e32 v[120:121], s[12:13], v[40:41]
	v_add_f64 v[40:41], v[122:123], v[30:31]
	v_add_f64 v[30:31], v[30:31], v[36:37]
	v_mul_f64 v[22:23], v[66:67], v[94:95]
	v_fmac_f64_e32 v[122:123], -0.5, v[30:31]
	v_add_f64 v[26:27], v[26:27], -v[32:33]
	v_fmac_f64_e32 v[22:23], v[68:69], v[92:93]
	v_add_f64 v[40:41], v[40:41], v[36:37]
	v_fma_f64 v[36:37], s[12:13], v[26:27], v[122:123]
	v_fmac_f64_e32 v[122:123], s[2:3], v[26:27]
	v_add_f64 v[26:27], v[18:19], v[24:25]
	v_add_f64 v[38:39], v[38:39], v[32:33]
	;; [unrolled: 1-line block ×3, first 2 shown]
	v_fmac_f64_e32 v[116:117], -0.5, v[26:27]
	v_add_f64 v[32:33], v[22:23], -v[28:29]
	v_fma_f64 v[26:27], s[2:3], v[32:33], v[116:117]
	v_fmac_f64_e32 v[116:117], s[12:13], v[32:33]
	v_add_f64 v[32:33], v[118:119], v[22:23]
	v_add_f64 v[22:23], v[22:23], v[28:29]
	v_fmac_f64_e32 v[118:119], -0.5, v[22:23]
	v_add_f64 v[18:19], v[18:19], -v[24:25]
	v_add_f64 v[32:33], v[32:33], v[28:29]
	v_fma_f64 v[28:29], s[12:13], v[18:19], v[118:119]
	v_fmac_f64_e32 v[118:119], s[2:3], v[18:19]
	v_add_f64 v[18:19], v[12:13], v[16:17]
	v_add_f64 v[30:31], v[30:31], v[24:25]
	;; [unrolled: 1-line block ×3, first 2 shown]
	v_fmac_f64_e32 v[4:5], -0.5, v[18:19]
	v_add_f64 v[24:25], v[14:15], -v[20:21]
	v_fma_f64 v[18:19], s[2:3], v[24:25], v[4:5]
	v_fmac_f64_e32 v[4:5], s[12:13], v[24:25]
	v_add_f64 v[24:25], v[6:7], v[14:15]
	v_add_f64 v[14:15], v[14:15], v[20:21]
	v_fmac_f64_e32 v[6:7], -0.5, v[14:15]
	v_add_f64 v[12:13], v[12:13], -v[16:17]
	v_add_f64 v[24:25], v[24:25], v[20:21]
	v_fma_f64 v[20:21], s[12:13], v[12:13], v[6:7]
	v_fmac_f64_e32 v[6:7], s[2:3], v[12:13]
	v_lshrrev_b32_e32 v12, 5, v132
	v_mul_u32_u24_e32 v12, 0x60, v12
	v_or_b32_e32 v12, v12, v56
	v_add_f64 v[64:65], v[52:53], v[50:51]
	v_lshl_add_u32 v12, v12, 4, v137
	ds_write_b128 v57, v[128:131] offset:1024
	ds_write_b128 v12, v[62:65]
	ds_write_b128 v12, v[58:61] offset:512
	ds_write_b128 v12, v[0:3] offset:1024
	v_lshrrev_b32_e32 v0, 5, v10
	v_mul_u32_u24_e32 v0, 0x60, v0
	v_or_b32_e32 v0, v0, v11
	v_lshl_add_u32 v0, v0, 4, v137
	ds_write_b128 v0, v[46:49]
	ds_write_b128 v0, v[42:45] offset:512
	v_accvgpr_write_b32 a131, v0
	ds_write_b128 v0, v[124:127] offset:1024
	v_lshrrev_b32_e32 v0, 5, v140
	v_mul_u32_u24_e32 v0, 0x60, v0
	v_or_b32_e32 v0, v0, v55
	v_lshl_add_u32 v0, v0, 4, v137
	ds_write_b128 v0, v[38:41]
	ds_write_b128 v0, v[34:37] offset:512
	v_accvgpr_write_b32 a132, v0
	;; [unrolled: 8-line block ×3, first 2 shown]
	ds_write_b128 v0, v[116:119] offset:1024
	v_lshrrev_b32_e32 v0, 5, v156
	v_mul_u32_u24_e32 v0, 0x60, v0
	v_or_b32_e32 v0, v0, v54
	v_add_f64 v[22:23], v[22:23], v[16:17]
	v_lshl_add_u32 v0, v0, 4, v137
	ds_write_b128 v0, v[22:25]
	ds_write_b128 v0, v[18:21] offset:512
	v_accvgpr_write_b32 a135, v0
	ds_write_b128 v0, v[4:7] offset:1024
	v_lshl_add_u64 v[0:1], v[8:9], 0, s[18:19]
	v_cndmask_b32_e64 v5, v1, 0, vcc
	v_cndmask_b32_e32 v4, v0, v8, vcc
	v_lshlrev_b64 v[0:1], 5, v[4:5]
	v_lshl_add_u64 v[0:1], s[10:11], 0, v[0:1]
	s_waitcnt lgkmcnt(0)
	s_barrier
	global_load_dwordx4 v[116:119], v[0:1], off offset:1520
	global_load_dwordx4 v[120:123], v[0:1], off offset:1504
	v_mul_lo_u16_sdwa v0, v132, s15 dst_sel:DWORD dst_unused:UNUSED_PAD src0_sel:BYTE_0 src1_sel:DWORD
	v_lshrrev_b16_e32 v9, 14, v0
	v_mul_lo_u16_e32 v0, 0x60, v9
	v_sub_u16_e32 v11, v132, v0
	v_mov_b32_e32 v0, 5
	v_lshlrev_b32_sdwa v0, v0, v11 dst_sel:DWORD dst_unused:UNUSED_PAD src0_sel:DWORD src1_sel:BYTE_0
	global_load_dwordx4 v[124:127], v0, s[10:11] offset:1520
	global_load_dwordx4 v[128:131], v0, s[10:11] offset:1504
	s_mov_b32 s15, 0xaaab
	v_mul_u32_u24_sdwa v0, v10, s15 dst_sel:DWORD dst_unused:UNUSED_PAD src0_sel:WORD_0 src1_sel:DWORD
	v_lshrrev_b32_e32 v70, 22, v0
	v_mul_lo_u16_e32 v0, 0x60, v70
	v_sub_u16_e32 v71, v10, v0
	v_lshlrev_b16_e32 v0, 5, v71
	v_mov_b32_e32 v1, v159
	v_lshl_add_u64 v[0:1], s[10:11], 0, v[0:1]
	global_load_dwordx4 v[96:99], v[0:1], off offset:1504
	global_load_dwordx4 v[132:135], v[0:1], off offset:1520
	v_accvgpr_write_b32 a129, v12
	ds_read_b128 v[0:3], v136 offset:10752
	ds_read_b128 v[12:15], v136 offset:12544
	;; [unrolled: 1-line block ×6, first 2 shown]
	v_accvgpr_write_b32 a126, v142
	v_accvgpr_write_b32 a127, v143
	v_mov_b32_e32 v5, 0x120
	s_waitcnt vmcnt(5) lgkmcnt(3)
	v_mul_f64 v[46:47], v[16:17], v[118:119]
	s_waitcnt vmcnt(4)
	v_mul_f64 v[6:7], v[2:3], v[122:123]
	v_fma_f64 v[36:37], v[0:1], v[120:121], -v[6:7]
	v_mul_f64 v[40:41], v[0:1], v[122:123]
	v_mul_f64 v[0:1], v[18:19], v[118:119]
	v_fma_f64 v[42:43], v[16:17], v[116:117], -v[0:1]
	v_fmac_f64_e32 v[40:41], v[2:3], v[120:121]
	v_fmac_f64_e32 v[46:47], v[18:19], v[116:117]
	s_waitcnt vmcnt(2)
	v_mul_f64 v[0:1], v[14:15], v[130:131]
	v_fma_f64 v[16:17], v[12:13], v[128:129], -v[0:1]
	s_waitcnt lgkmcnt(2)
	v_mul_f64 v[0:1], v[28:29], v[126:127]
	v_fma_f64 v[22:23], v[26:27], v[124:125], -v[0:1]
	ds_read_b128 v[0:3], v136 offset:25088
	v_mul_f64 v[20:21], v[12:13], v[130:131]
	v_fmac_f64_e32 v[20:21], v[14:15], v[128:129]
	v_mul_f64 v[26:27], v[26:27], v[126:127]
	s_waitcnt vmcnt(1) lgkmcnt(2)
	v_mul_f64 v[12:13], v[30:31], v[98:99]
	v_mul_f64 v[6:7], v[32:33], v[98:99]
	v_fmac_f64_e32 v[12:13], v[32:33], v[96:97]
	ds_read_b128 v[32:35], v136 offset:26880
	s_waitcnt vmcnt(0) lgkmcnt(1)
	v_mul_f64 v[14:15], v[2:3], v[134:135]
	v_fma_f64 v[14:15], v[0:1], v[132:133], -v[14:15]
	v_mul_f64 v[18:19], v[0:1], v[134:135]
	v_mul_u32_u24_sdwa v0, v140, s15 dst_sel:DWORD dst_unused:UNUSED_PAD src0_sel:WORD_0 src1_sel:DWORD
	v_lshrrev_b32_e32 v138, 22, v0
	v_mul_lo_u16_e32 v0, 0x60, v138
	v_sub_u16_e32 v139, v140, v0
	v_lshlrev_b16_e32 v0, 5, v139
	v_mov_b32_e32 v1, v159
	v_lshl_add_u64 v[0:1], s[10:11], 0, v[0:1]
	global_load_dwordx4 v[140:143], v[0:1], off offset:1504
	global_load_dwordx4 v[144:147], v[0:1], off offset:1520
	v_fma_f64 v[6:7], v[30:31], v[96:97], -v[6:7]
	v_fmac_f64_e32 v[18:19], v[2:3], v[132:133]
	v_fmac_f64_e32 v[26:27], v[28:29], v[124:125]
	s_waitcnt vmcnt(1)
	v_mul_f64 v[0:1], v[50:51], v[142:143]
	v_fma_f64 v[24:25], v[48:49], v[140:141], -v[0:1]
	s_waitcnt vmcnt(0) lgkmcnt(0)
	v_mul_f64 v[0:1], v[34:35], v[146:147]
	v_fma_f64 v[30:31], v[32:33], v[144:145], -v[0:1]
	v_mul_u32_u24_sdwa v0, v148, s15 dst_sel:DWORD dst_unused:UNUSED_PAD src0_sel:WORD_0 src1_sel:DWORD
	v_lshrrev_b32_e32 v168, 22, v0
	v_mul_lo_u16_e32 v0, 0x60, v168
	v_sub_u16_e32 v169, v148, v0
	v_lshlrev_b16_e32 v0, 5, v169
	v_mov_b32_e32 v1, v159
	v_lshl_add_u64 v[0:1], s[10:11], 0, v[0:1]
	global_load_dwordx4 v[148:151], v[0:1], off offset:1504
	global_load_dwordx4 v[152:155], v[0:1], off offset:1520
	ds_read_b128 v[0:3], v136 offset:17920
	ds_read_b128 v[52:55], v136 offset:19712
	v_mul_f64 v[32:33], v[32:33], v[146:147]
	v_fmac_f64_e32 v[32:33], v[34:35], v[144:145]
	v_mul_f64 v[28:29], v[48:49], v[142:143]
	v_fmac_f64_e32 v[28:29], v[50:51], v[140:141]
	s_waitcnt vmcnt(1) lgkmcnt(1)
	v_mul_f64 v[34:35], v[2:3], v[150:151]
	v_mul_f64 v[38:39], v[0:1], v[150:151]
	v_fma_f64 v[34:35], v[0:1], v[148:149], -v[34:35]
	v_fmac_f64_e32 v[38:39], v[2:3], v[148:149]
	ds_read_b128 v[0:3], v136 offset:28672
	ds_read_b128 v[56:59], v136 offset:30464
	s_waitcnt vmcnt(0) lgkmcnt(1)
	v_mul_f64 v[44:45], v[2:3], v[154:155]
	v_fma_f64 v[44:45], v[0:1], v[152:153], -v[44:45]
	v_mul_f64 v[48:49], v[0:1], v[154:155]
	v_mul_u32_u24_sdwa v0, v156, s15 dst_sel:DWORD dst_unused:UNUSED_PAD src0_sel:WORD_0 src1_sel:DWORD
	v_lshrrev_b32_e32 v170, 22, v0
	v_mul_lo_u16_e32 v0, 0x60, v170
	v_sub_u16_e32 v171, v156, v0
	v_lshlrev_b16_e32 v0, 5, v171
	v_mov_b32_e32 v1, v159
	v_lshl_add_u64 v[0:1], s[10:11], 0, v[0:1]
	global_load_dwordx4 v[156:159], v[0:1], off offset:1504
	global_load_dwordx4 v[160:163], v[0:1], off offset:1520
	s_movk_i32 s15, 0x5f
	v_fmac_f64_e32 v[48:49], v[2:3], v[152:153]
	v_cmp_lt_u16_e32 vcc, s15, v8
	s_movk_i32 s15, 0x120
	s_waitcnt vmcnt(1)
	v_mul_f64 v[0:1], v[54:55], v[158:159]
	v_fma_f64 v[50:51], v[52:53], v[156:157], -v[0:1]
	v_mul_f64 v[52:53], v[52:53], v[158:159]
	s_waitcnt vmcnt(0) lgkmcnt(0)
	v_mul_f64 v[0:1], v[58:59], v[162:163]
	v_fmac_f64_e32 v[52:53], v[54:55], v[156:157]
	v_fma_f64 v[54:55], v[56:57], v[160:161], -v[0:1]
	v_mul_f64 v[56:57], v[56:57], v[162:163]
	v_fmac_f64_e32 v[56:57], v[58:59], v[160:161]
	ds_read_b128 v[58:61], v136
	ds_read_b128 v[0:3], v136 offset:1792
	v_cndmask_b32_e32 v5, 0, v5, vcc
	v_add_u32_e32 v4, v4, v5
	v_lshl_add_u32 v172, v4, 4, v137
	v_add_f64 v[4:5], v[36:37], v[42:43]
	s_waitcnt lgkmcnt(1)
	v_add_f64 v[62:63], v[58:59], v[36:37]
	v_add_f64 v[64:65], v[60:61], v[40:41]
	v_fmac_f64_e32 v[58:59], -0.5, v[4:5]
	v_add_f64 v[4:5], v[40:41], -v[46:47]
	v_add_f64 v[40:41], v[40:41], v[46:47]
	v_fmac_f64_e32 v[60:61], -0.5, v[40:41]
	v_add_f64 v[36:37], v[36:37], -v[42:43]
	v_add_f64 v[62:63], v[62:63], v[42:43]
	v_fma_f64 v[40:41], s[2:3], v[4:5], v[58:59]
	v_fma_f64 v[42:43], s[12:13], v[36:37], v[60:61]
	v_fmac_f64_e32 v[58:59], s[12:13], v[4:5]
	s_waitcnt lgkmcnt(0)
	v_add_f64 v[4:5], v[0:1], v[16:17]
	ds_read_b128 v[66:69], v136 offset:3584
	ds_read_b128 v[164:167], v136 offset:5376
	;; [unrolled: 1-line block ×4, first 2 shown]
	s_waitcnt lgkmcnt(0)
	s_barrier
	ds_write_b128 v172, v[40:43] offset:1536
	v_add_f64 v[40:41], v[4:5], v[22:23]
	v_add_f64 v[4:5], v[2:3], v[20:21]
	;; [unrolled: 1-line block ×3, first 2 shown]
	v_mul_u32_u24_e32 v4, 0x120, v9
	v_add_u32_sdwa v4, v4, v11 dst_sel:DWORD dst_unused:UNUSED_PAD src0_sel:DWORD src1_sel:BYTE_0
	v_lshl_add_u32 v9, v4, 4, v137
	v_add_f64 v[4:5], v[16:17], v[22:23]
	v_fmac_f64_e32 v[0:1], -0.5, v[4:5]
	v_add_f64 v[4:5], v[20:21], -v[26:27]
	v_add_f64 v[20:21], v[20:21], v[26:27]
	v_fmac_f64_e32 v[2:3], -0.5, v[20:21]
	v_add_f64 v[16:17], v[16:17], -v[22:23]
	v_add_f64 v[64:65], v[64:65], v[46:47]
	v_fmac_f64_e32 v[60:61], s[2:3], v[36:37]
	v_fma_f64 v[20:21], s[2:3], v[4:5], v[0:1]
	v_fma_f64 v[22:23], s[12:13], v[16:17], v[2:3]
	v_fmac_f64_e32 v[0:1], s[12:13], v[4:5]
	v_fmac_f64_e32 v[2:3], s[2:3], v[16:17]
	ds_write_b128 v172, v[62:65]
	ds_write_b128 v172, v[58:61] offset:3072
	ds_write_b128 v9, v[0:3] offset:3072
	v_add_f64 v[0:1], v[66:67], v[6:7]
	v_add_f64 v[2:3], v[68:69], v[12:13]
	v_mad_legacy_u16 v4, v70, s15, v71
	ds_write_b128 v9, v[40:43]
	ds_write_b128 v9, v[20:23] offset:1536
	v_accvgpr_write_b32 a137, v9
	v_add_f64 v[0:1], v[0:1], v[14:15]
	v_add_f64 v[2:3], v[2:3], v[18:19]
	v_lshl_add_u32 v9, v4, 4, v137
	ds_write_b128 v9, v[0:3]
	v_add_f64 v[0:1], v[6:7], v[14:15]
	v_fmac_f64_e32 v[66:67], -0.5, v[0:1]
	v_add_f64 v[0:1], v[12:13], v[18:19]
	v_add_f64 v[4:5], v[12:13], -v[18:19]
	v_fmac_f64_e32 v[68:69], -0.5, v[0:1]
	v_add_f64 v[6:7], v[6:7], -v[14:15]
	v_fma_f64 v[0:1], s[2:3], v[4:5], v[66:67]
	v_fma_f64 v[2:3], s[12:13], v[6:7], v[68:69]
	ds_write_b128 v9, v[0:3] offset:1536
	v_fmac_f64_e32 v[66:67], s[12:13], v[4:5]
	v_add_f64 v[0:1], v[164:165], v[24:25]
	v_add_f64 v[2:3], v[166:167], v[28:29]
	v_mad_legacy_u16 v4, v138, s15, v139
	v_fmac_f64_e32 v[68:69], s[2:3], v[6:7]
	v_add_f64 v[0:1], v[0:1], v[30:31]
	v_add_f64 v[2:3], v[2:3], v[32:33]
	v_lshl_add_u32 v138, v4, 4, v137
	ds_write_b128 v9, v[66:69] offset:3072
	ds_write_b128 v138, v[0:3]
	v_add_f64 v[0:1], v[24:25], v[30:31]
	v_fmac_f64_e32 v[164:165], -0.5, v[0:1]
	v_add_f64 v[0:1], v[28:29], v[32:33]
	v_add_f64 v[4:5], v[28:29], -v[32:33]
	v_fmac_f64_e32 v[166:167], -0.5, v[0:1]
	v_add_f64 v[6:7], v[24:25], -v[30:31]
	v_fma_f64 v[0:1], s[2:3], v[4:5], v[164:165]
	v_fma_f64 v[2:3], s[12:13], v[6:7], v[166:167]
	ds_write_b128 v138, v[0:3] offset:1536
	v_fmac_f64_e32 v[164:165], s[12:13], v[4:5]
	v_add_f64 v[0:1], v[236:237], v[34:35]
	v_add_f64 v[2:3], v[238:239], v[38:39]
	v_mad_legacy_u16 v4, v168, s15, v169
	v_accvgpr_write_b32 a146, v9
	v_fmac_f64_e32 v[166:167], s[2:3], v[6:7]
	v_add_f64 v[0:1], v[0:1], v[44:45]
	v_add_f64 v[2:3], v[2:3], v[48:49]
	v_lshl_add_u32 v9, v4, 4, v137
	ds_write_b128 v138, v[164:167] offset:3072
	ds_write_b128 v9, v[0:3]
	v_add_f64 v[0:1], v[34:35], v[44:45]
	v_fmac_f64_e32 v[236:237], -0.5, v[0:1]
	v_add_f64 v[0:1], v[38:39], v[48:49]
	v_add_f64 v[4:5], v[38:39], -v[48:49]
	v_fmac_f64_e32 v[238:239], -0.5, v[0:1]
	v_add_f64 v[6:7], v[34:35], -v[44:45]
	v_fma_f64 v[0:1], s[2:3], v[4:5], v[236:237]
	v_fma_f64 v[2:3], s[12:13], v[6:7], v[238:239]
	ds_write_b128 v9, v[0:3] offset:1536
	v_add_f64 v[2:3], v[196:197], v[50:51]
	v_add_f64 v[0:1], v[50:51], v[54:55]
	;; [unrolled: 1-line block ×4, first 2 shown]
	v_fmac_f64_e32 v[236:237], s[12:13], v[4:5]
	v_fmac_f64_e32 v[196:197], -0.5, v[0:1]
	v_add_f64 v[4:5], v[52:53], -v[56:57]
	v_add_f64 v[202:203], v[2:3], v[56:57]
	v_add_f64 v[2:3], v[52:53], v[56:57]
	v_fma_f64 v[0:1], s[2:3], v[4:5], v[196:197]
	v_fmac_f64_e32 v[196:197], s[12:13], v[4:5]
	v_fmac_f64_e32 v[198:199], -0.5, v[2:3]
	v_add_f64 v[4:5], v[50:51], -v[54:55]
	v_fma_f64 v[2:3], s[12:13], v[4:5], v[198:199]
	v_fmac_f64_e32 v[198:199], s[2:3], v[4:5]
	v_mad_legacy_u16 v4, v170, s15, v171
	v_fmac_f64_e32 v[238:239], s[2:3], v[6:7]
	v_lshl_add_u32 v139, v4, 4, v137
	v_accvgpr_write_b32 a136, v172
	ds_write_b128 v9, v[236:239] offset:3072
	ds_write_b128 v139, v[200:203]
	ds_write_b128 v139, v[0:3] offset:1536
	ds_write_b128 v139, v[196:199] offset:3072
	s_waitcnt lgkmcnt(0)
	s_barrier
	ds_read_b128 v[244:247], v136
	ds_read_b128 v[240:243], v136 offset:1792
	ds_read_b128 v[224:227], v136 offset:4608
	;; [unrolled: 1-line block ×13, first 2 shown]
	s_load_dwordx2 s[2:3], s[0:1], 0x38
	v_cmp_gt_u16_e32 vcc, 64, v8
                                        ; implicit-def: $vgpr4_vgpr5
	s_and_saveexec_b64 s[0:1], vcc
	s_cbranch_execz .LBB0_3
; %bb.2:
	ds_read_b128 v[236:239], v136 offset:3584
	ds_read_b128 v[200:203], v136 offset:8192
	;; [unrolled: 1-line block ×7, first 2 shown]
.LBB0_3:
	s_or_b64 exec, exec, s[0:1]
	v_mov_b64_e32 v[12:13], s[10:11]
	v_mad_u64_u32 v[52:53], s[0:1], v8, s14, v[12:13]
	v_add_co_u32_e64 v28, s[0:1], s16, v52
	s_mov_b64 s[12:13], 0x11e0
	s_nop 0
	v_addc_co_u32_e64 v29, s[0:1], 0, v53, s[0:1]
	v_lshl_add_u64 v[12:13], v[52:53], 0, s[12:13]
	global_load_dwordx4 v[184:187], v[28:29], off offset:480
	global_load_dwordx4 v[180:183], v[12:13], off offset:48
	;; [unrolled: 1-line block ×4, first 2 shown]
	s_mov_b64 s[14:15], 0x1220
	v_lshl_add_u64 v[30:31], v[52:53], 0, s[14:15]
	s_mov_b64 s[0:1], 0x3be0
	v_subrev_u32_e32 v11, 64, v8
	v_cndmask_b32_e32 v10, v11, v10, vcc
	v_mul_hi_i32_i24_e32 v11, 0x60, v10
	v_mul_i32_i24_e32 v10, 0x60, v10
	s_mov_b32 s18, 0x5476071b
	s_mov_b32 s22, 0xb247c609
	;; [unrolled: 1-line block ×10, first 2 shown]
	s_waitcnt vmcnt(3) lgkmcnt(0)
	v_mul_f64 v[12:13], v[226:227], v[186:187]
	s_waitcnt vmcnt(2)
	v_mul_f64 v[24:25], v[206:207], v[182:183]
	s_waitcnt vmcnt(1)
	v_mul_f64 v[20:21], v[210:211], v[190:191]
	v_mul_f64 v[22:23], v[208:209], v[190:191]
	;; [unrolled: 1-line block ×3, first 2 shown]
	v_fma_f64 v[20:21], v[208:209], v[188:189], -v[20:21]
	v_fmac_f64_e32 v[22:23], v[210:211], v[188:189]
	v_fma_f64 v[24:25], v[204:205], v[180:181], -v[24:25]
	v_fmac_f64_e32 v[26:27], v[206:207], v[180:181]
	global_load_dwordx4 v[204:207], v[28:29], off offset:544
	global_load_dwordx4 v[208:211], v[30:31], off offset:16
	v_mul_f64 v[14:15], v[224:225], v[186:187]
	s_waitcnt vmcnt(2)
	v_mul_f64 v[16:17], v[222:223], v[194:195]
	v_mul_f64 v[18:19], v[220:221], v[194:195]
	v_fma_f64 v[12:13], v[224:225], v[184:185], -v[12:13]
	v_fmac_f64_e32 v[14:15], v[226:227], v[184:185]
	v_fma_f64 v[16:17], v[220:221], v[192:193], -v[16:17]
	v_fmac_f64_e32 v[18:19], v[222:223], v[192:193]
	s_waitcnt vmcnt(1)
	v_mul_f64 v[28:29], v[218:219], v[206:207]
	v_fma_f64 v[44:45], v[216:217], v[204:205], -v[28:29]
	s_waitcnt vmcnt(0)
	v_mul_f64 v[28:29], v[214:215], v[210:211]
	v_fma_f64 v[48:49], v[212:213], v[208:209], -v[28:29]
	v_lshl_add_u64 v[28:29], v[52:53], 0, s[0:1]
	v_add_co_u32_e64 v54, s[0:1], s17, v52
	v_mul_f64 v[46:47], v[216:217], v[206:207]
	v_mul_f64 v[50:51], v[212:213], v[210:211]
	v_addc_co_u32_e64 v55, s[0:1], 0, v53, s[0:1]
	v_fmac_f64_e32 v[46:47], v[218:219], v[204:205]
	v_fmac_f64_e32 v[50:51], v[214:215], v[208:209]
	global_load_dwordx4 v[220:223], v[54:55], off offset:3040
	global_load_dwordx4 v[212:215], v[28:29], off offset:48
	;; [unrolled: 1-line block ×4, first 2 shown]
	s_mov_b64 s[0:1], 0x3c20
	v_lshl_add_u64 v[52:53], v[52:53], 0, s[0:1]
	s_waitcnt vmcnt(3)
	v_mul_f64 v[28:29], v[234:235], v[222:223]
	v_mul_f64 v[30:31], v[232:233], v[222:223]
	v_fma_f64 v[28:29], v[232:233], v[220:221], -v[28:29]
	s_waitcnt vmcnt(0)
	v_mul_f64 v[32:33], v[230:231], v[226:227]
	v_mul_f64 v[34:35], v[228:229], v[226:227]
	v_fmac_f64_e32 v[30:31], v[234:235], v[220:221]
	v_fma_f64 v[32:33], v[228:229], v[224:225], -v[32:33]
	v_fmac_f64_e32 v[34:35], v[230:231], v[224:225]
	global_load_dwordx4 v[232:235], v[54:55], off offset:3104
	global_load_dwordx4 v[228:231], v[52:53], off offset:16
	v_mul_f64 v[40:41], v[174:175], v[214:215]
	v_mul_f64 v[42:43], v[172:173], v[214:215]
	v_fma_f64 v[40:41], v[172:173], v[212:213], -v[40:41]
	v_fmac_f64_e32 v[42:43], v[174:175], v[212:213]
	v_mul_f64 v[36:37], v[178:179], v[218:219]
	v_fma_f64 v[36:37], v[176:177], v[216:217], -v[36:37]
	v_mul_f64 v[38:39], v[176:177], v[218:219]
	v_fmac_f64_e32 v[38:39], v[178:179], v[216:217]
	s_waitcnt vmcnt(1)
	v_mul_f64 v[52:53], v[170:171], v[234:235]
	v_fma_f64 v[64:65], v[168:169], v[232:233], -v[52:53]
	s_waitcnt vmcnt(0)
	v_mul_f64 v[52:53], v[166:167], v[230:231]
	v_fma_f64 v[68:69], v[164:165], v[228:229], -v[52:53]
	v_mul_f64 v[70:71], v[164:165], v[230:231]
	v_lshl_add_u64 v[164:165], s[10:11], 0, v[10:11]
	v_fmac_f64_e32 v[70:71], v[166:167], v[228:229]
	v_add_co_u32_e64 v166, s[0:1], s16, v164
	v_mul_f64 v[66:67], v[168:169], v[234:235]
	s_nop 0
	v_addc_co_u32_e64 v167, s[0:1], 0, v165, s[0:1]
	v_fmac_f64_e32 v[66:67], v[170:171], v[232:233]
	v_lshl_add_u64 v[10:11], v[164:165], 0, s[12:13]
	global_load_dwordx4 v[54:57], v[166:167], off offset:480
	global_load_dwordx4 v[168:171], v[10:11], off offset:48
	;; [unrolled: 1-line block ×4, first 2 shown]
	s_mov_b32 s10, 0x37e14327
	s_mov_b32 s0, 0x36b3c0b5
	;; [unrolled: 1-line block ×8, first 2 shown]
	s_waitcnt vmcnt(3)
	v_mul_f64 v[10:11], v[202:203], v[56:57]
	v_mul_f64 v[52:53], v[200:201], v[56:57]
	v_accvgpr_write_b32 a151, v57
	v_fma_f64 v[10:11], v[200:201], v[54:55], -v[10:11]
	v_accvgpr_write_b32 a150, v56
	v_accvgpr_write_b32 a149, v55
	;; [unrolled: 1-line block ×3, first 2 shown]
	v_fmac_f64_e32 v[52:53], v[202:203], v[54:55]
	s_waitcnt vmcnt(0)
	v_mul_f64 v[54:55], v[2:3], v[60:61]
	v_fma_f64 v[54:55], v[0:1], v[58:59], -v[54:55]
	v_mul_f64 v[56:57], v[0:1], v[60:61]
	v_accvgpr_write_b32 a155, v61
	v_mul_f64 v[0:1], v[198:199], v[174:175]
	v_accvgpr_write_b32 a154, v60
	v_accvgpr_write_b32 a153, v59
	;; [unrolled: 1-line block ×3, first 2 shown]
	v_fmac_f64_e32 v[56:57], v[2:3], v[58:59]
	v_fma_f64 v[58:59], v[196:197], v[172:173], -v[0:1]
	v_mul_f64 v[0:1], v[6:7], v[170:171]
	v_fma_f64 v[62:63], v[4:5], v[168:169], -v[0:1]
	v_lshl_add_u64 v[0:1], v[164:165], 0, s[14:15]
	global_load_dwordx4 v[164:167], v[166:167], off offset:544
	s_nop 0
	global_load_dwordx4 v[200:203], v[0:1], off offset:16
	v_mul_f64 v[4:5], v[4:5], v[170:171]
	v_fmac_f64_e32 v[4:5], v[6:7], v[168:169]
	v_accvgpr_write_b32 a138, v168
	v_add_f64 v[2:3], v[14:15], v[50:51]
	v_add_f64 v[14:15], v[14:15], -v[50:51]
	v_add_f64 v[50:51], v[18:19], v[46:47]
	v_mul_f64 v[60:61], v[196:197], v[174:175]
	v_accvgpr_write_b32 a142, v172
	v_accvgpr_write_b32 a139, v169
	;; [unrolled: 1-line block ×4, first 2 shown]
	v_add_f64 v[18:19], v[18:19], -v[46:47]
	v_add_f64 v[46:47], v[22:23], v[26:27]
	v_add_f64 v[22:23], v[26:27], -v[22:23]
	v_add_f64 v[26:27], v[50:51], v[2:3]
	v_accvgpr_write_b32 a143, v173
	v_accvgpr_write_b32 a144, v174
	;; [unrolled: 1-line block ×3, first 2 shown]
	v_fmac_f64_e32 v[60:61], v[198:199], v[172:173]
	v_add_f64 v[170:171], v[2:3], -v[46:47]
	v_add_f64 v[26:27], v[46:47], v[26:27]
	s_mov_b32 s14, 0xe976ee23
	v_add_f64 v[174:175], v[22:23], -v[18:19]
	s_mov_b32 s15, 0xbfe11646
	s_waitcnt vmcnt(1)
	v_mul_f64 v[0:1], v[250:251], v[166:167]
	v_fma_f64 v[6:7], v[248:249], v[164:165], -v[0:1]
	v_mul_f64 v[248:249], v[248:249], v[166:167]
	s_waitcnt vmcnt(0)
	v_mul_f64 v[0:1], v[254:255], v[202:203]
	v_fmac_f64_e32 v[248:249], v[250:251], v[164:165]
	v_fma_f64 v[250:251], v[252:253], v[200:201], -v[0:1]
	v_add_f64 v[0:1], v[12:13], v[48:49]
	v_add_f64 v[12:13], v[12:13], -v[48:49]
	v_add_f64 v[48:49], v[16:17], v[44:45]
	v_accvgpr_write_b32 a156, v164
	v_add_f64 v[16:17], v[16:17], -v[44:45]
	v_add_f64 v[44:45], v[20:21], v[24:25]
	v_add_f64 v[20:21], v[24:25], -v[20:21]
	v_add_f64 v[24:25], v[48:49], v[0:1]
	v_accvgpr_write_b32 a157, v165
	v_accvgpr_write_b32 a158, v166
	;; [unrolled: 1-line block ×3, first 2 shown]
	v_add_f64 v[164:165], v[48:49], -v[0:1]
	v_add_f64 v[168:169], v[0:1], -v[44:45]
	v_add_f64 v[0:1], v[20:21], v[16:17]
	v_add_f64 v[24:25], v[44:45], v[24:25]
	v_add_f64 v[166:167], v[50:51], -v[2:3]
	v_add_f64 v[2:3], v[22:23], v[18:19]
	v_add_f64 v[172:173], v[20:21], -v[16:17]
	v_add_f64 v[20:21], v[12:13], -v[20:21]
	;; [unrolled: 1-line block ×3, first 2 shown]
	v_add_f64 v[12:13], v[0:1], v[12:13]
	v_add_f64 v[0:1], v[244:245], v[24:25]
	v_add_f64 v[48:49], v[44:45], -v[48:49]
	v_add_f64 v[50:51], v[46:47], -v[50:51]
	;; [unrolled: 1-line block ×4, first 2 shown]
	v_add_f64 v[14:15], v[2:3], v[14:15]
	v_add_f64 v[2:3], v[246:247], v[26:27]
	v_mov_b64_e32 v[196:197], v[0:1]
	v_mul_f64 v[44:45], v[168:169], s[10:11]
	v_mul_f64 v[46:47], v[170:171], s[10:11]
	;; [unrolled: 1-line block ×7, first 2 shown]
	v_fmac_f64_e32 v[196:197], s[16:17], v[24:25]
	v_mov_b64_e32 v[24:25], v[2:3]
	v_mul_f64 v[178:179], v[18:19], s[12:13]
	v_fmac_f64_e32 v[24:25], s[16:17], v[26:27]
	v_fma_f64 v[26:27], v[164:165], s[18:19], -v[168:169]
	v_fma_f64 v[168:169], v[166:167], s[18:19], -v[170:171]
	;; [unrolled: 1-line block ×3, first 2 shown]
	v_fmac_f64_e32 v[44:45], s[0:1], v[48:49]
	v_fma_f64 v[48:49], v[166:167], s[20:21], -v[46:47]
	v_fmac_f64_e32 v[46:47], s[0:1], v[50:51]
	v_fma_f64 v[16:17], v[16:17], s[12:13], -v[176:177]
	;; [unrolled: 2-line block ×3, first 2 shown]
	v_fma_f64 v[18:19], v[18:19], s[12:13], -v[172:173]
	v_fmac_f64_e32 v[172:173], s[22:23], v[22:23]
	v_fma_f64 v[22:23], v[22:23], s[26:27], -v[178:179]
	v_add_f64 v[178:179], v[46:47], v[24:25]
	v_add_f64 v[166:167], v[168:169], v[24:25]
	;; [unrolled: 1-line block ×3, first 2 shown]
	v_fmac_f64_e32 v[20:21], s[24:25], v[12:13]
	v_add_f64 v[168:169], v[164:165], v[196:197]
	v_fmac_f64_e32 v[176:177], s[24:25], v[12:13]
	v_fmac_f64_e32 v[16:17], s[24:25], v[12:13]
	;; [unrolled: 1-line block ×3, first 2 shown]
	v_add_f64 v[50:51], v[24:25], -v[20:21]
	v_add_f64 v[170:171], v[20:21], v[24:25]
	v_add_f64 v[12:13], v[28:29], v[68:69]
	;; [unrolled: 1-line block ×4, first 2 shown]
	v_fmac_f64_e32 v[172:173], s[24:25], v[14:15]
	v_fmac_f64_e32 v[18:19], s[24:25], v[14:15]
	v_add_f64 v[48:49], v[22:23], v[168:169]
	v_add_f64 v[246:247], v[16:17], v[166:167]
	v_add_f64 v[166:167], v[166:167], -v[16:17]
	v_add_f64 v[168:169], v[168:169], -v[22:23]
	v_add_f64 v[14:15], v[30:31], v[70:71]
	v_add_f64 v[16:17], v[28:29], -v[68:69]
	v_add_f64 v[22:23], v[34:35], v[66:67]
	;; [unrolled: 2-line block ×5, first 2 shown]
	v_add_f64 v[18:19], v[30:31], -v[70:71]
	v_add_f64 v[26:27], v[34:35], -v[66:67]
	v_add_f64 v[30:31], v[38:39], v[42:43]
	v_add_f64 v[34:35], v[42:43], -v[38:39]
	v_add_f64 v[38:39], v[22:23], v[14:15]
	v_add_f64 v[64:65], v[20:21], -v[12:13]
	v_add_f64 v[12:13], v[12:13], -v[28:29]
	;; [unrolled: 1-line block ×3, first 2 shown]
	v_add_f64 v[40:41], v[32:33], v[24:25]
	v_add_f64 v[28:29], v[28:29], v[36:37]
	;; [unrolled: 1-line block ×3, first 2 shown]
	v_add_f64 v[66:67], v[22:23], -v[14:15]
	v_add_f64 v[14:15], v[14:15], -v[30:31]
	;; [unrolled: 1-line block ×3, first 2 shown]
	v_add_f64 v[42:43], v[34:35], v[26:27]
	v_add_f64 v[68:69], v[32:33], -v[24:25]
	v_add_f64 v[32:33], v[16:17], -v[32:33]
	;; [unrolled: 1-line block ×3, first 2 shown]
	v_add_f64 v[30:31], v[30:31], v[38:39]
	v_add_f64 v[16:17], v[40:41], v[16:17]
	;; [unrolled: 1-line block ×4, first 2 shown]
	v_add_f64 v[46:47], v[178:179], -v[176:177]
	v_add_f64 v[172:173], v[174:175], -v[172:173]
	v_add_f64 v[174:175], v[176:177], v[178:179]
	v_add_f64 v[70:71], v[34:35], -v[26:27]
	v_add_f64 v[34:35], v[18:19], -v[34:35]
	;; [unrolled: 1-line block ×3, first 2 shown]
	v_add_f64 v[18:19], v[42:43], v[18:19]
	v_add_f64 v[42:43], v[242:243], v[30:31]
	v_mov_b64_e32 v[176:177], v[40:41]
	v_mul_f64 v[12:13], v[12:13], s[10:11]
	v_mul_f64 v[14:15], v[14:15], s[10:11]
	;; [unrolled: 1-line block ×7, first 2 shown]
	v_fmac_f64_e32 v[176:177], s[16:17], v[28:29]
	v_mov_b64_e32 v[28:29], v[42:43]
	v_mul_f64 v[252:253], v[252:253], v[202:203]
	v_mul_f64 v[70:71], v[26:27], s[12:13]
	v_fmac_f64_e32 v[28:29], s[16:17], v[30:31]
	v_fma_f64 v[30:31], v[64:65], s[18:19], -v[36:37]
	v_fma_f64 v[36:37], v[66:67], s[18:19], -v[38:39]
	v_fma_f64 v[38:39], v[64:65], s[20:21], -v[12:13]
	v_fmac_f64_e32 v[12:13], s[0:1], v[20:21]
	v_fma_f64 v[20:21], v[66:67], s[20:21], -v[14:15]
	v_fmac_f64_e32 v[14:15], s[0:1], v[22:23]
	v_fma_f64 v[22:23], v[24:25], s[12:13], -v[198:199]
	;; [unrolled: 2-line block ×5, first 2 shown]
	v_add_f64 v[12:13], v[12:13], v[176:177]
	v_add_f64 v[14:15], v[14:15], v[28:29]
	;; [unrolled: 1-line block ×3, first 2 shown]
	v_fmac_f64_e32 v[198:199], s[24:25], v[16:17]
	v_fmac_f64_e32 v[196:197], s[24:25], v[18:19]
	;; [unrolled: 1-line block ×3, first 2 shown]
	v_add_f64 v[30:31], v[30:31], v[176:177]
	v_add_f64 v[34:35], v[36:37], v[28:29]
	;; [unrolled: 1-line block ×3, first 2 shown]
	v_fmac_f64_e32 v[22:23], s[24:25], v[16:17]
	v_fmac_f64_e32 v[24:25], s[24:25], v[18:19]
	;; [unrolled: 1-line block ×3, first 2 shown]
	v_add_f64 v[64:65], v[196:197], v[12:13]
	v_add_f64 v[66:67], v[14:15], -v[198:199]
	v_add_f64 v[70:71], v[20:21], -v[26:27]
	v_add_f64 v[178:179], v[26:27], v[20:21]
	v_add_f64 v[196:197], v[12:13], -v[196:197]
	v_add_f64 v[198:199], v[198:199], v[14:15]
	v_add_f64 v[12:13], v[10:11], v[250:251]
	;; [unrolled: 1-line block ×6, first 2 shown]
	v_add_f64 v[240:241], v[30:31], -v[24:25]
	v_add_f64 v[242:243], v[22:23], v[34:35]
	v_add_f64 v[36:37], v[24:25], v[30:31]
	v_add_f64 v[38:39], v[34:35], -v[22:23]
	v_add_f64 v[176:177], v[176:177], -v[32:33]
	;; [unrolled: 1-line block ×6, first 2 shown]
	v_add_f64 v[24:25], v[58:59], v[62:63]
	v_add_f64 v[26:27], v[60:61], v[4:5]
	v_add_f64 v[28:29], v[62:63], -v[58:59]
	v_add_f64 v[4:5], v[4:5], -v[60:61]
	v_add_f64 v[30:31], v[18:19], v[12:13]
	v_add_f64 v[32:33], v[20:21], v[14:15]
	v_add_f64 v[34:35], v[18:19], -v[12:13]
	v_add_f64 v[52:53], v[20:21], -v[14:15]
	;; [unrolled: 1-line block ×6, first 2 shown]
	v_add_f64 v[54:55], v[28:29], v[6:7]
	v_add_f64 v[56:57], v[4:5], v[22:23]
	v_add_f64 v[58:59], v[28:29], -v[6:7]
	v_add_f64 v[60:61], v[4:5], -v[22:23]
	;; [unrolled: 1-line block ×4, first 2 shown]
	v_add_f64 v[24:25], v[24:25], v[30:31]
	v_add_f64 v[26:27], v[26:27], v[32:33]
	v_add_f64 v[28:29], v[10:11], -v[28:29]
	v_add_f64 v[62:63], v[16:17], -v[4:5]
	v_add_f64 v[54:55], v[54:55], v[10:11]
	v_add_f64 v[56:57], v[56:57], v[16:17]
	;; [unrolled: 1-line block ×4, first 2 shown]
	v_mul_f64 v[12:13], v[12:13], s[10:11]
	v_mul_f64 v[16:17], v[14:15], s[10:11]
	;; [unrolled: 1-line block ×8, first 2 shown]
	v_fma_f64 v[236:237], s[16:17], v[24:25], v[4:5]
	v_fma_f64 v[238:239], s[16:17], v[26:27], v[6:7]
	;; [unrolled: 1-line block ×3, first 2 shown]
	v_fma_f64 v[250:251], v[34:35], s[18:19], -v[14:15]
	v_fma_f64 v[30:31], v[52:53], s[18:19], -v[30:31]
	;; [unrolled: 1-line block ×4, first 2 shown]
	v_fmac_f64_e32 v[16:17], s[0:1], v[20:21]
	v_fma_f64 v[12:13], s[22:23], v[28:29], v[32:33]
	v_fma_f64 v[24:25], v[248:249], s[12:13], -v[32:33]
	v_fma_f64 v[20:21], v[22:23], s[12:13], -v[10:11]
	v_fmac_f64_e32 v[10:11], s[22:23], v[62:63]
	v_fma_f64 v[22:23], v[28:29], s[26:27], -v[58:59]
	v_fma_f64 v[18:19], v[62:63], s[26:27], -v[60:61]
	v_add_f64 v[14:15], v[26:27], v[236:237]
	v_add_f64 v[16:17], v[16:17], v[238:239]
	;; [unrolled: 1-line block ×6, first 2 shown]
	v_fmac_f64_e32 v[12:13], s[24:25], v[54:55]
	v_fmac_f64_e32 v[10:11], s[24:25], v[56:57]
	;; [unrolled: 1-line block ×6, first 2 shown]
	v_add_f64 v[236:237], v[20:21], v[28:29]
	v_add_f64 v[238:239], v[32:33], -v[24:25]
	v_add_f64 v[52:53], v[26:27], -v[18:19]
	v_add_f64 v[54:55], v[22:23], v[30:31]
	v_add_f64 v[56:57], v[14:15], -v[10:11]
	v_add_f64 v[58:59], v[12:13], v[16:17]
	v_lshl_add_u32 v34, v8, 4, v137
	ds_write_b128 v136, v[0:3]
	ds_write_b128 v34, v[44:47] offset:4608
	ds_write_b128 v34, v[48:51] offset:9216
	;; [unrolled: 1-line block ×13, first 2 shown]
	s_and_saveexec_b64 s[0:1], vcc
	s_cbranch_execz .LBB0_5
; %bb.4:
	v_add_f64 v[2:3], v[24:25], v[32:33]
	v_add_f64 v[0:1], v[28:29], -v[20:21]
	v_add_f64 v[20:21], v[30:31], -v[22:23]
	v_add_f64 v[18:19], v[18:19], v[26:27]
	v_add_f64 v[12:13], v[16:17], -v[12:13]
	v_add_f64 v[10:11], v[10:11], v[14:15]
	ds_write_b128 v136, v[4:7] offset:3584
	ds_write_b128 v34, v[10:13] offset:8192
	;; [unrolled: 1-line block ×7, first 2 shown]
.LBB0_5:
	s_or_b64 exec, exec, s[0:1]
	s_add_u32 s8, s8, 0x7e00
	s_addc_u32 s9, s9, 0
	v_lshlrev_b32_e32 v6, 4, v8
	s_waitcnt lgkmcnt(0)
	s_barrier
	global_load_dwordx4 v[10:13], v6, s[8:9]
	ds_read_b128 v[0:3], v136
	v_mov_b32_e32 v7, 0
	v_lshl_add_u64 v[4:5], s[8:9], 0, v[6:7]
	s_movk_i32 s0, 0x3000
	v_accvgpr_read_b32 v35, a39
	s_waitcnt vmcnt(0) lgkmcnt(0)
	v_mul_f64 v[14:15], v[2:3], v[12:13]
	v_fma_f64 v[14:15], v[0:1], v[10:11], -v[14:15]
	v_mul_f64 v[16:17], v[0:1], v[12:13]
	v_add_co_u32_e64 v0, s[0:1], s0, v4
	v_fmac_f64_e32 v[16:17], v[2:3], v[10:11]
	s_nop 0
	v_addc_co_u32_e64 v1, s[0:1], 0, v5, s[0:1]
	ds_write_b128 v136, v[14:17]
	global_load_dwordx4 v[14:17], v[0:1], off offset:3840
	ds_read_b128 v[10:13], v136 offset:16128
	s_movk_i32 s0, 0x4000
	s_waitcnt vmcnt(0) lgkmcnt(0)
	v_mul_f64 v[2:3], v[12:13], v[16:17]
	v_mul_f64 v[20:21], v[10:11], v[16:17]
	v_fma_f64 v[18:19], v[10:11], v[14:15], -v[2:3]
	v_fmac_f64_e32 v[20:21], v[12:13], v[14:15]
	global_load_dwordx4 v[14:17], v6, s[8:9] offset:1792
	ds_read_b128 v[10:13], v136 offset:1792
	ds_write_b128 v136, v[18:21] offset:16128
	s_waitcnt vmcnt(0) lgkmcnt(1)
	v_mul_f64 v[2:3], v[12:13], v[16:17]
	v_fma_f64 v[18:19], v[10:11], v[14:15], -v[2:3]
	v_add_co_u32_e64 v2, s[0:1], s0, v4
	v_mul_f64 v[20:21], v[10:11], v[16:17]
	s_nop 0
	v_addc_co_u32_e64 v3, s[0:1], 0, v5, s[0:1]
	v_fmac_f64_e32 v[20:21], v[12:13], v[14:15]
	global_load_dwordx4 v[14:17], v[2:3], off offset:1536
	ds_read_b128 v[10:13], v136 offset:17920
	ds_write_b128 v136, v[18:21] offset:1792
	s_movk_i32 s0, 0x1000
	s_waitcnt vmcnt(0) lgkmcnt(1)
	v_mul_f64 v[18:19], v[12:13], v[16:17]
	v_mul_f64 v[20:21], v[10:11], v[16:17]
	v_fma_f64 v[18:19], v[10:11], v[14:15], -v[18:19]
	v_fmac_f64_e32 v[20:21], v[12:13], v[14:15]
	global_load_dwordx4 v[14:17], v6, s[8:9] offset:3584
	ds_read_b128 v[10:13], v136 offset:3584
	ds_write_b128 v136, v[18:21] offset:17920
	s_waitcnt vmcnt(0) lgkmcnt(1)
	v_mul_f64 v[6:7], v[12:13], v[16:17]
	v_mul_f64 v[20:21], v[10:11], v[16:17]
	v_fma_f64 v[18:19], v[10:11], v[14:15], -v[6:7]
	v_fmac_f64_e32 v[20:21], v[12:13], v[14:15]
	global_load_dwordx4 v[14:17], v[2:3], off offset:3328
	ds_read_b128 v[10:13], v136 offset:19712
	ds_write_b128 v136, v[18:21] offset:3584
	s_waitcnt vmcnt(0) lgkmcnt(1)
	v_mul_f64 v[2:3], v[12:13], v[16:17]
	v_fma_f64 v[18:19], v[10:11], v[14:15], -v[2:3]
	v_add_co_u32_e64 v2, s[0:1], s0, v4
	v_mul_f64 v[20:21], v[10:11], v[16:17]
	s_nop 0
	v_addc_co_u32_e64 v3, s[0:1], 0, v5, s[0:1]
	v_fmac_f64_e32 v[20:21], v[12:13], v[14:15]
	global_load_dwordx4 v[14:17], v[2:3], off offset:1280
	ds_read_b128 v[10:13], v136 offset:5376
	s_movk_i32 s0, 0x5000
	ds_write_b128 v136, v[18:21] offset:19712
	s_waitcnt vmcnt(0) lgkmcnt(1)
	v_mul_f64 v[6:7], v[12:13], v[16:17]
	v_fma_f64 v[18:19], v[10:11], v[14:15], -v[6:7]
	v_add_co_u32_e64 v6, s[0:1], s0, v4
	v_mul_f64 v[20:21], v[10:11], v[16:17]
	s_nop 0
	v_addc_co_u32_e64 v7, s[0:1], 0, v5, s[0:1]
	v_fmac_f64_e32 v[20:21], v[12:13], v[14:15]
	global_load_dwordx4 v[14:17], v[6:7], off offset:1024
	ds_read_b128 v[10:13], v136 offset:21504
	ds_write_b128 v136, v[18:21] offset:5376
	s_movk_i32 s0, 0x2000
	s_waitcnt vmcnt(0) lgkmcnt(1)
	v_mul_f64 v[18:19], v[12:13], v[16:17]
	v_mul_f64 v[20:21], v[10:11], v[16:17]
	v_fma_f64 v[18:19], v[10:11], v[14:15], -v[18:19]
	v_fmac_f64_e32 v[20:21], v[12:13], v[14:15]
	global_load_dwordx4 v[14:17], v[2:3], off offset:3072
	ds_read_b128 v[10:13], v136 offset:7168
	ds_write_b128 v136, v[18:21] offset:21504
	s_waitcnt vmcnt(0) lgkmcnt(1)
	v_mul_f64 v[2:3], v[12:13], v[16:17]
	v_mul_f64 v[20:21], v[10:11], v[16:17]
	v_fma_f64 v[18:19], v[10:11], v[14:15], -v[2:3]
	v_fmac_f64_e32 v[20:21], v[12:13], v[14:15]
	global_load_dwordx4 v[14:17], v[6:7], off offset:2816
	ds_read_b128 v[10:13], v136 offset:23296
	ds_write_b128 v136, v[18:21] offset:7168
	s_waitcnt vmcnt(0) lgkmcnt(1)
	v_mul_f64 v[2:3], v[12:13], v[16:17]
	v_fma_f64 v[18:19], v[10:11], v[14:15], -v[2:3]
	v_add_co_u32_e64 v2, s[0:1], s0, v4
	v_mul_f64 v[20:21], v[10:11], v[16:17]
	s_nop 0
	v_addc_co_u32_e64 v3, s[0:1], 0, v5, s[0:1]
	v_fmac_f64_e32 v[20:21], v[12:13], v[14:15]
	global_load_dwordx4 v[14:17], v[2:3], off offset:768
	ds_read_b128 v[10:13], v136 offset:8960
	s_movk_i32 s0, 0x6000
	ds_write_b128 v136, v[18:21] offset:23296
	s_waitcnt vmcnt(0) lgkmcnt(1)
	v_mul_f64 v[6:7], v[12:13], v[16:17]
	v_fma_f64 v[18:19], v[10:11], v[14:15], -v[6:7]
	v_add_co_u32_e64 v6, s[0:1], s0, v4
	v_mul_f64 v[20:21], v[10:11], v[16:17]
	s_nop 0
	v_addc_co_u32_e64 v7, s[0:1], 0, v5, s[0:1]
	v_fmac_f64_e32 v[20:21], v[12:13], v[14:15]
	global_load_dwordx4 v[14:17], v[6:7], off offset:512
	ds_read_b128 v[10:13], v136 offset:25088
	ds_write_b128 v136, v[18:21] offset:8960
	s_movk_i32 s0, 0x7000
	v_add_co_u32_e64 v4, s[0:1], s0, v4
	s_waitcnt vmcnt(0) lgkmcnt(1)
	v_mul_f64 v[18:19], v[12:13], v[16:17]
	v_mul_f64 v[20:21], v[10:11], v[16:17]
	v_fma_f64 v[18:19], v[10:11], v[14:15], -v[18:19]
	v_fmac_f64_e32 v[20:21], v[12:13], v[14:15]
	global_load_dwordx4 v[14:17], v[2:3], off offset:2560
	ds_read_b128 v[10:13], v136 offset:10752
	ds_write_b128 v136, v[18:21] offset:25088
	v_addc_co_u32_e64 v5, s[0:1], 0, v5, s[0:1]
	s_mov_b32 s0, 0xe8584caa
	s_mov_b32 s1, 0xbfebb67a
	s_waitcnt vmcnt(0) lgkmcnt(1)
	v_mul_f64 v[2:3], v[12:13], v[16:17]
	v_mul_f64 v[20:21], v[10:11], v[16:17]
	v_fma_f64 v[18:19], v[10:11], v[14:15], -v[2:3]
	v_fmac_f64_e32 v[20:21], v[12:13], v[14:15]
	global_load_dwordx4 v[14:17], v[6:7], off offset:2304
	ds_read_b128 v[10:13], v136 offset:26880
	ds_write_b128 v136, v[18:21] offset:10752
	s_waitcnt vmcnt(0) lgkmcnt(1)
	v_mul_f64 v[2:3], v[12:13], v[16:17]
	v_fma_f64 v[18:19], v[10:11], v[14:15], -v[2:3]
	global_load_dwordx4 v[0:3], v[0:1], off offset:256
	v_mul_f64 v[20:21], v[10:11], v[16:17]
	v_fmac_f64_e32 v[20:21], v[12:13], v[14:15]
	ds_read_b128 v[10:13], v136 offset:12544
	ds_write_b128 v136, v[18:21] offset:26880
	s_waitcnt vmcnt(0) lgkmcnt(1)
	v_mul_f64 v[6:7], v[12:13], v[2:3]
	v_fma_f64 v[14:15], v[10:11], v[0:1], -v[6:7]
	v_mul_f64 v[16:17], v[10:11], v[2:3]
	v_accvgpr_read_b32 v6, a133
	v_fmac_f64_e32 v[16:17], v[12:13], v[0:1]
	global_load_dwordx4 v[10:13], v6, s[8:9]
	ds_read_b128 v[0:3], v136 offset:28672
	ds_write_b128 v136, v[14:17] offset:12544
	s_waitcnt vmcnt(0) lgkmcnt(1)
	v_mul_f64 v[6:7], v[2:3], v[12:13]
	v_fma_f64 v[14:15], v[0:1], v[10:11], -v[6:7]
	v_mul_f64 v[16:17], v[0:1], v[12:13]
	v_accvgpr_read_b32 v6, a130
	v_fmac_f64_e32 v[16:17], v[2:3], v[10:11]
	global_load_dwordx4 v[10:13], v6, s[8:9]
	ds_read_b128 v[0:3], v136 offset:14336
	ds_write_b128 v136, v[14:17] offset:28672
	s_mov_b32 s9, 0x3febb67a
	s_mov_b32 s8, s0
	s_waitcnt vmcnt(0) lgkmcnt(1)
	v_mul_f64 v[6:7], v[2:3], v[12:13]
	v_fma_f64 v[14:15], v[0:1], v[10:11], -v[6:7]
	global_load_dwordx4 v[4:7], v[4:5], off offset:1792
	v_mul_f64 v[16:17], v[0:1], v[12:13]
	v_fmac_f64_e32 v[16:17], v[2:3], v[10:11]
	ds_read_b128 v[0:3], v136 offset:30464
	ds_write_b128 v136, v[14:17] offset:14336
	s_waitcnt vmcnt(0) lgkmcnt(1)
	v_mul_f64 v[10:11], v[2:3], v[6:7]
	v_mul_f64 v[12:13], v[0:1], v[6:7]
	v_fma_f64 v[10:11], v[0:1], v[4:5], -v[10:11]
	v_fmac_f64_e32 v[12:13], v[2:3], v[4:5]
	ds_write_b128 v136, v[10:13] offset:30464
	s_waitcnt lgkmcnt(0)
	s_barrier
	ds_read_b128 v[0:3], v136
	ds_read_b128 v[4:7], v136 offset:16128
	ds_read_b128 v[10:13], v136 offset:1792
	;; [unrolled: 1-line block ×17, first 2 shown]
	s_waitcnt lgkmcnt(14)
	v_add_f64 v[4:5], v[0:1], -v[4:5]
	v_add_f64 v[6:7], v[2:3], -v[6:7]
	v_fma_f64 v[0:1], v[0:1], 2.0, -v[4:5]
	v_fma_f64 v[2:3], v[2:3], 2.0, -v[6:7]
	v_add_f64 v[14:15], v[10:11], -v[14:15]
	v_add_f64 v[16:17], v[12:13], -v[16:17]
	v_fma_f64 v[10:11], v[10:11], 2.0, -v[14:15]
	v_fma_f64 v[12:13], v[12:13], 2.0, -v[16:17]
	s_waitcnt lgkmcnt(12)
	v_add_f64 v[22:23], v[18:19], -v[22:23]
	v_add_f64 v[24:25], v[20:21], -v[24:25]
	s_waitcnt lgkmcnt(0)
	s_barrier
	ds_write_b128 v35, v[0:3]
	ds_write_b128 v35, v[4:7] offset:16
	v_accvgpr_read_b32 v0, a76
	v_fma_f64 v[18:19], v[18:19], 2.0, -v[22:23]
	v_fma_f64 v[20:21], v[20:21], 2.0, -v[24:25]
	v_add_f64 v[30:31], v[26:27], -v[30:31]
	v_add_f64 v[32:33], v[28:29], -v[32:33]
	ds_write_b128 v0, v[10:13]
	ds_write_b128 v0, v[14:17] offset:16
	v_accvgpr_read_b32 v0, a77
	v_fma_f64 v[26:27], v[26:27], 2.0, -v[30:31]
	v_fma_f64 v[28:29], v[28:29], 2.0, -v[32:33]
	v_add_f64 v[40:41], v[36:37], -v[40:41]
	v_add_f64 v[42:43], v[38:39], -v[42:43]
	;; [unrolled: 7-line block ×6, first 2 shown]
	ds_write_b128 v0, v[60:63]
	ds_write_b128 v0, v[64:67] offset:16
	v_accvgpr_read_b32 v0, a82
	v_fma_f64 v[168:169], v[168:169], 2.0, -v[172:173]
	v_fma_f64 v[170:171], v[170:171], 2.0, -v[174:175]
	ds_write_b128 v0, v[68:71]
	ds_write_b128 v0, v[164:167] offset:16
	v_accvgpr_read_b32 v0, a83
	ds_write_b128 v0, v[168:171]
	ds_write_b128 v0, v[172:175] offset:16
	s_waitcnt lgkmcnt(0)
	s_barrier
	ds_read_b128 v[0:3], v136
	ds_read_b128 v[4:7], v136 offset:16128
	ds_read_b128 v[10:13], v136 offset:1792
	;; [unrolled: 1-line block ×17, first 2 shown]
	s_waitcnt lgkmcnt(14)
	v_mul_f64 v[176:177], v[74:75], v[6:7]
	v_fmac_f64_e32 v[176:177], v[72:73], v[4:5]
	v_mul_f64 v[4:5], v[74:75], v[4:5]
	v_fma_f64 v[6:7], v[72:73], v[6:7], -v[4:5]
	v_mul_f64 v[4:5], v[74:75], v[14:15]
	v_mul_f64 v[178:179], v[74:75], v[16:17]
	v_fma_f64 v[16:17], v[72:73], v[16:17], -v[4:5]
	s_waitcnt lgkmcnt(12)
	v_mul_f64 v[4:5], v[74:75], v[22:23]
	v_mul_f64 v[196:197], v[74:75], v[24:25]
	v_fma_f64 v[24:25], v[72:73], v[24:25], -v[4:5]
	s_waitcnt lgkmcnt(10)
	;; [unrolled: 4-line block ×6, first 2 shown]
	v_mul_f64 v[246:247], v[74:75], v[166:167]
	v_mul_f64 v[4:5], v[74:75], v[164:165]
	v_fmac_f64_e32 v[246:247], v[72:73], v[164:165]
	v_fma_f64 v[164:165], v[72:73], v[166:167], -v[4:5]
	s_waitcnt lgkmcnt(0)
	v_mul_f64 v[166:167], v[74:75], v[174:175]
	v_mul_f64 v[4:5], v[74:75], v[172:173]
	v_fmac_f64_e32 v[178:179], v[72:73], v[14:15]
	v_fmac_f64_e32 v[166:167], v[72:73], v[172:173]
	v_fma_f64 v[172:173], v[72:73], v[174:175], -v[4:5]
	v_add_f64 v[4:5], v[0:1], -v[176:177]
	v_add_f64 v[6:7], v[2:3], -v[6:7]
	v_fmac_f64_e32 v[196:197], v[72:73], v[22:23]
	v_fma_f64 v[0:1], v[0:1], 2.0, -v[4:5]
	v_fma_f64 v[2:3], v[2:3], 2.0, -v[6:7]
	v_add_f64 v[14:15], v[10:11], -v[178:179]
	v_add_f64 v[16:17], v[12:13], -v[16:17]
	v_accvgpr_read_b32 v35, a84
	v_fmac_f64_e32 v[198:199], v[72:73], v[30:31]
	v_fma_f64 v[10:11], v[10:11], 2.0, -v[14:15]
	v_fma_f64 v[12:13], v[12:13], 2.0, -v[16:17]
	v_add_f64 v[22:23], v[18:19], -v[196:197]
	v_add_f64 v[24:25], v[20:21], -v[24:25]
	s_barrier
	ds_write_b128 v35, v[0:3]
	ds_write_b128 v35, v[4:7] offset:32
	v_accvgpr_read_b32 v0, a85
	v_fmac_f64_e32 v[240:241], v[72:73], v[40:41]
	v_fma_f64 v[18:19], v[18:19], 2.0, -v[22:23]
	v_fma_f64 v[20:21], v[20:21], 2.0, -v[24:25]
	v_add_f64 v[30:31], v[26:27], -v[198:199]
	v_add_f64 v[32:33], v[28:29], -v[32:33]
	ds_write_b128 v0, v[10:13]
	ds_write_b128 v0, v[14:17] offset:32
	v_accvgpr_read_b32 v0, a86
	v_fmac_f64_e32 v[242:243], v[72:73], v[48:49]
	v_fma_f64 v[26:27], v[26:27], 2.0, -v[30:31]
	v_fma_f64 v[28:29], v[28:29], 2.0, -v[32:33]
	v_add_f64 v[40:41], v[36:37], -v[240:241]
	v_add_f64 v[42:43], v[38:39], -v[42:43]
	;; [unrolled: 8-line block ×3, first 2 shown]
	ds_write_b128 v0, v[26:29]
	ds_write_b128 v0, v[30:33] offset:32
	v_accvgpr_read_b32 v0, a88
	v_fma_f64 v[44:45], v[44:45], 2.0, -v[48:49]
	v_fma_f64 v[46:47], v[46:47], 2.0, -v[50:51]
	v_add_f64 v[64:65], v[60:61], -v[244:245]
	v_add_f64 v[66:67], v[62:63], -v[66:67]
	ds_write_b128 v0, v[36:39]
	ds_write_b128 v0, v[40:43] offset:32
	v_accvgpr_read_b32 v0, a89
	v_fma_f64 v[60:61], v[60:61], 2.0, -v[64:65]
	v_fma_f64 v[62:63], v[62:63], 2.0, -v[66:67]
	v_add_f64 v[72:73], v[68:69], -v[246:247]
	v_add_f64 v[74:75], v[70:71], -v[164:165]
	ds_write_b128 v0, v[44:47]
	ds_write_b128 v0, v[48:51] offset:32
	v_accvgpr_read_b32 v0, a90
	v_fma_f64 v[68:69], v[68:69], 2.0, -v[72:73]
	v_fma_f64 v[70:71], v[70:71], 2.0, -v[74:75]
	v_add_f64 v[164:165], v[168:169], -v[166:167]
	v_add_f64 v[166:167], v[170:171], -v[172:173]
	ds_write_b128 v0, v[60:63]
	ds_write_b128 v0, v[64:67] offset:32
	v_accvgpr_read_b32 v0, a91
	v_fma_f64 v[168:169], v[168:169], 2.0, -v[164:165]
	v_fma_f64 v[170:171], v[170:171], 2.0, -v[166:167]
	ds_write_b128 v0, v[68:71]
	ds_write_b128 v0, v[72:75] offset:32
	v_accvgpr_read_b32 v0, a92
	ds_write_b128 v0, v[168:171]
	ds_write_b128 v0, v[164:167] offset:32
	s_waitcnt lgkmcnt(0)
	s_barrier
	ds_read_b128 v[0:3], v136
	ds_read_b128 v[4:7], v136 offset:16128
	ds_read_b128 v[10:13], v136 offset:1792
	;; [unrolled: 1-line block ×17, first 2 shown]
	s_waitcnt lgkmcnt(14)
	v_mul_f64 v[172:173], v[78:79], v[6:7]
	v_fmac_f64_e32 v[172:173], v[76:77], v[4:5]
	v_mul_f64 v[4:5], v[78:79], v[4:5]
	v_fma_f64 v[6:7], v[76:77], v[6:7], -v[4:5]
	v_mul_f64 v[4:5], v[78:79], v[14:15]
	v_mul_f64 v[174:175], v[78:79], v[16:17]
	v_fma_f64 v[16:17], v[76:77], v[16:17], -v[4:5]
	s_waitcnt lgkmcnt(12)
	v_mul_f64 v[4:5], v[78:79], v[22:23]
	v_mul_f64 v[176:177], v[78:79], v[24:25]
	v_fma_f64 v[24:25], v[76:77], v[24:25], -v[4:5]
	s_waitcnt lgkmcnt(10)
	;; [unrolled: 4-line block ×7, first 2 shown]
	v_mul_f64 v[4:5], v[78:79], v[168:169]
	v_fmac_f64_e32 v[174:175], v[76:77], v[14:15]
	v_mul_f64 v[244:245], v[78:79], v[170:171]
	v_fma_f64 v[78:79], v[76:77], v[170:171], -v[4:5]
	v_add_f64 v[4:5], v[0:1], -v[172:173]
	v_add_f64 v[6:7], v[2:3], -v[6:7]
	v_fmac_f64_e32 v[176:177], v[76:77], v[22:23]
	v_fma_f64 v[0:1], v[0:1], 2.0, -v[4:5]
	v_fma_f64 v[2:3], v[2:3], 2.0, -v[6:7]
	v_add_f64 v[14:15], v[10:11], -v[174:175]
	v_add_f64 v[16:17], v[12:13], -v[16:17]
	v_accvgpr_read_b32 v35, a93
	v_fmac_f64_e32 v[178:179], v[76:77], v[30:31]
	v_fma_f64 v[10:11], v[10:11], 2.0, -v[14:15]
	v_fma_f64 v[12:13], v[12:13], 2.0, -v[16:17]
	v_add_f64 v[22:23], v[18:19], -v[176:177]
	v_add_f64 v[24:25], v[20:21], -v[24:25]
	s_barrier
	ds_write_b128 v35, v[0:3]
	ds_write_b128 v35, v[4:7] offset:64
	v_accvgpr_read_b32 v0, a94
	v_fmac_f64_e32 v[196:197], v[76:77], v[40:41]
	v_fma_f64 v[18:19], v[18:19], 2.0, -v[22:23]
	v_fma_f64 v[20:21], v[20:21], 2.0, -v[24:25]
	v_add_f64 v[30:31], v[26:27], -v[178:179]
	v_add_f64 v[32:33], v[28:29], -v[32:33]
	ds_write_b128 v0, v[10:13]
	ds_write_b128 v0, v[14:17] offset:64
	v_accvgpr_read_b32 v0, a95
	v_fmac_f64_e32 v[198:199], v[76:77], v[48:49]
	v_fma_f64 v[26:27], v[26:27], 2.0, -v[30:31]
	v_fma_f64 v[28:29], v[28:29], 2.0, -v[32:33]
	v_add_f64 v[40:41], v[36:37], -v[196:197]
	v_add_f64 v[42:43], v[38:39], -v[42:43]
	;; [unrolled: 8-line block ×5, first 2 shown]
	ds_write_b128 v0, v[44:47]
	ds_write_b128 v0, v[48:51] offset:64
	v_accvgpr_read_b32 v0, a99
	v_fma_f64 v[68:69], v[68:69], 2.0, -v[72:73]
	v_fma_f64 v[70:71], v[70:71], 2.0, -v[74:75]
	v_add_f64 v[76:77], v[164:165], -v[244:245]
	v_add_f64 v[78:79], v[166:167], -v[78:79]
	ds_write_b128 v0, v[60:63]
	ds_write_b128 v0, v[64:67] offset:64
	v_accvgpr_read_b32 v0, a100
	v_fma_f64 v[164:165], v[164:165], 2.0, -v[76:77]
	v_fma_f64 v[166:167], v[166:167], 2.0, -v[78:79]
	ds_write_b128 v0, v[68:71]
	ds_write_b128 v0, v[72:75] offset:64
	v_accvgpr_read_b32 v0, a101
	ds_write_b128 v0, v[164:167]
	ds_write_b128 v0, v[76:79] offset:64
	s_waitcnt lgkmcnt(0)
	s_barrier
	ds_read_b128 v[0:3], v136
	ds_read_b128 v[4:7], v136 offset:16128
	ds_read_b128 v[10:13], v136 offset:1792
	;; [unrolled: 1-line block ×17, first 2 shown]
	s_waitcnt lgkmcnt(14)
	v_mul_f64 v[168:169], v[82:83], v[6:7]
	v_fmac_f64_e32 v[168:169], v[80:81], v[4:5]
	v_mul_f64 v[4:5], v[82:83], v[4:5]
	v_fma_f64 v[6:7], v[80:81], v[6:7], -v[4:5]
	v_mul_f64 v[4:5], v[82:83], v[14:15]
	v_mul_f64 v[170:171], v[82:83], v[16:17]
	v_fma_f64 v[16:17], v[80:81], v[16:17], -v[4:5]
	s_waitcnt lgkmcnt(12)
	v_mul_f64 v[4:5], v[82:83], v[22:23]
	v_mul_f64 v[172:173], v[82:83], v[24:25]
	v_fma_f64 v[24:25], v[80:81], v[24:25], -v[4:5]
	s_waitcnt lgkmcnt(10)
	;; [unrolled: 4-line block ×7, first 2 shown]
	v_mul_f64 v[4:5], v[82:83], v[164:165]
	v_fmac_f64_e32 v[170:171], v[80:81], v[14:15]
	v_mul_f64 v[240:241], v[82:83], v[166:167]
	v_fma_f64 v[82:83], v[80:81], v[166:167], -v[4:5]
	v_add_f64 v[4:5], v[0:1], -v[168:169]
	v_add_f64 v[6:7], v[2:3], -v[6:7]
	v_fmac_f64_e32 v[172:173], v[80:81], v[22:23]
	v_fma_f64 v[0:1], v[0:1], 2.0, -v[4:5]
	v_fma_f64 v[2:3], v[2:3], 2.0, -v[6:7]
	v_add_f64 v[14:15], v[10:11], -v[170:171]
	v_add_f64 v[16:17], v[12:13], -v[16:17]
	v_accvgpr_read_b32 v35, a102
	v_fmac_f64_e32 v[174:175], v[80:81], v[30:31]
	v_fma_f64 v[10:11], v[10:11], 2.0, -v[14:15]
	v_fma_f64 v[12:13], v[12:13], 2.0, -v[16:17]
	v_add_f64 v[22:23], v[18:19], -v[172:173]
	v_add_f64 v[24:25], v[20:21], -v[24:25]
	s_barrier
	ds_write_b128 v35, v[0:3]
	ds_write_b128 v35, v[4:7] offset:128
	v_accvgpr_read_b32 v0, a103
	v_fmac_f64_e32 v[176:177], v[80:81], v[40:41]
	v_fma_f64 v[18:19], v[18:19], 2.0, -v[22:23]
	v_fma_f64 v[20:21], v[20:21], 2.0, -v[24:25]
	v_add_f64 v[30:31], v[26:27], -v[174:175]
	v_add_f64 v[32:33], v[28:29], -v[32:33]
	ds_write_b128 v0, v[10:13]
	ds_write_b128 v0, v[14:17] offset:128
	v_accvgpr_read_b32 v0, a104
	v_fmac_f64_e32 v[178:179], v[80:81], v[48:49]
	v_fma_f64 v[26:27], v[26:27], 2.0, -v[30:31]
	v_fma_f64 v[28:29], v[28:29], 2.0, -v[32:33]
	v_add_f64 v[40:41], v[36:37], -v[176:177]
	v_add_f64 v[42:43], v[38:39], -v[42:43]
	;; [unrolled: 8-line block ×5, first 2 shown]
	ds_write_b128 v0, v[44:47]
	ds_write_b128 v0, v[48:51] offset:128
	v_accvgpr_read_b32 v0, a108
	v_fma_f64 v[68:69], v[68:69], 2.0, -v[72:73]
	v_fma_f64 v[70:71], v[70:71], 2.0, -v[74:75]
	v_add_f64 v[80:81], v[76:77], -v[240:241]
	v_add_f64 v[82:83], v[78:79], -v[82:83]
	ds_write_b128 v0, v[60:63]
	ds_write_b128 v0, v[64:67] offset:128
	v_accvgpr_read_b32 v0, a109
	v_fma_f64 v[76:77], v[76:77], 2.0, -v[80:81]
	v_fma_f64 v[78:79], v[78:79], 2.0, -v[82:83]
	ds_write_b128 v0, v[68:71]
	ds_write_b128 v0, v[72:75] offset:128
	v_accvgpr_read_b32 v0, a110
	ds_write_b128 v0, v[76:79]
	ds_write_b128 v0, v[80:83] offset:128
	s_waitcnt lgkmcnt(0)
	s_barrier
	ds_read_b128 v[0:3], v136
	ds_read_b128 v[4:7], v136 offset:16128
	ds_read_b128 v[10:13], v136 offset:1792
	;; [unrolled: 1-line block ×17, first 2 shown]
	s_waitcnt lgkmcnt(14)
	v_mul_f64 v[164:165], v[86:87], v[6:7]
	v_fmac_f64_e32 v[164:165], v[84:85], v[4:5]
	v_mul_f64 v[4:5], v[86:87], v[4:5]
	v_fma_f64 v[6:7], v[84:85], v[6:7], -v[4:5]
	v_mul_f64 v[4:5], v[86:87], v[14:15]
	v_mul_f64 v[166:167], v[86:87], v[16:17]
	v_fma_f64 v[16:17], v[84:85], v[16:17], -v[4:5]
	s_waitcnt lgkmcnt(12)
	v_mul_f64 v[4:5], v[86:87], v[22:23]
	v_mul_f64 v[168:169], v[86:87], v[24:25]
	v_fma_f64 v[24:25], v[84:85], v[24:25], -v[4:5]
	s_waitcnt lgkmcnt(10)
	;; [unrolled: 4-line block ×7, first 2 shown]
	v_mul_f64 v[4:5], v[86:87], v[80:81]
	v_fmac_f64_e32 v[166:167], v[84:85], v[14:15]
	v_mul_f64 v[196:197], v[86:87], v[82:83]
	v_fma_f64 v[82:83], v[84:85], v[82:83], -v[4:5]
	v_add_f64 v[4:5], v[0:1], -v[164:165]
	v_add_f64 v[6:7], v[2:3], -v[6:7]
	v_fmac_f64_e32 v[168:169], v[84:85], v[22:23]
	v_fma_f64 v[0:1], v[0:1], 2.0, -v[4:5]
	v_fma_f64 v[2:3], v[2:3], 2.0, -v[6:7]
	v_add_f64 v[14:15], v[10:11], -v[166:167]
	v_add_f64 v[16:17], v[12:13], -v[16:17]
	v_accvgpr_read_b32 v35, a111
	v_fmac_f64_e32 v[170:171], v[84:85], v[30:31]
	v_fma_f64 v[10:11], v[10:11], 2.0, -v[14:15]
	v_fma_f64 v[12:13], v[12:13], 2.0, -v[16:17]
	v_add_f64 v[22:23], v[18:19], -v[168:169]
	v_add_f64 v[24:25], v[20:21], -v[24:25]
	s_barrier
	ds_write_b128 v35, v[0:3]
	ds_write_b128 v35, v[4:7] offset:256
	v_accvgpr_read_b32 v0, a116
	v_fmac_f64_e32 v[172:173], v[84:85], v[40:41]
	v_fma_f64 v[18:19], v[18:19], 2.0, -v[22:23]
	v_fma_f64 v[20:21], v[20:21], 2.0, -v[24:25]
	v_add_f64 v[30:31], v[26:27], -v[170:171]
	v_add_f64 v[32:33], v[28:29], -v[32:33]
	ds_write_b128 v0, v[10:13]
	ds_write_b128 v0, v[14:17] offset:256
	v_accvgpr_read_b32 v0, a117
	v_fmac_f64_e32 v[174:175], v[84:85], v[48:49]
	v_fma_f64 v[26:27], v[26:27], 2.0, -v[30:31]
	v_fma_f64 v[28:29], v[28:29], 2.0, -v[32:33]
	v_add_f64 v[40:41], v[36:37], -v[172:173]
	v_add_f64 v[42:43], v[38:39], -v[42:43]
	;; [unrolled: 8-line block ×5, first 2 shown]
	ds_write_b128 v0, v[44:47]
	ds_write_b128 v0, v[48:51] offset:256
	v_accvgpr_read_b32 v0, a121
	v_fma_f64 v[68:69], v[68:69], 2.0, -v[72:73]
	v_fma_f64 v[70:71], v[70:71], 2.0, -v[74:75]
	v_add_f64 v[80:81], v[76:77], -v[196:197]
	v_add_f64 v[82:83], v[78:79], -v[82:83]
	ds_write_b128 v0, v[60:63]
	ds_write_b128 v0, v[64:67] offset:256
	v_accvgpr_read_b32 v0, a122
	v_fma_f64 v[76:77], v[76:77], 2.0, -v[80:81]
	v_fma_f64 v[78:79], v[78:79], 2.0, -v[82:83]
	ds_write_b128 v0, v[68:71]
	ds_write_b128 v0, v[72:75] offset:256
	v_accvgpr_read_b32 v0, a123
	ds_write_b128 v0, v[76:79]
	ds_write_b128 v0, v[80:83] offset:256
	s_waitcnt lgkmcnt(0)
	s_barrier
	ds_read_b128 v[0:3], v136
	ds_read_b128 v[10:13], v136 offset:10752
	ds_read_b128 v[14:17], v136 offset:21504
	;; [unrolled: 1-line block ×17, first 2 shown]
	s_waitcnt lgkmcnt(14)
	v_mul_f64 v[68:69], v[94:95], v[12:13]
	v_fmac_f64_e32 v[68:69], v[92:93], v[10:11]
	v_mul_f64 v[10:11], v[94:95], v[10:11]
	v_mul_f64 v[164:165], v[90:91], v[16:17]
	v_fma_f64 v[70:71], v[92:93], v[12:13], -v[10:11]
	v_fmac_f64_e32 v[164:165], v[88:89], v[14:15]
	v_mul_f64 v[10:11], v[90:91], v[14:15]
	v_accvgpr_read_b32 v12, a112
	v_accvgpr_read_b32 v14, a114
	;; [unrolled: 1-line block ×4, first 2 shown]
	v_fma_f64 v[16:17], v[88:89], v[16:17], -v[10:11]
	s_waitcnt lgkmcnt(13)
	v_mul_f64 v[166:167], v[14:15], v[20:21]
	v_accvgpr_read_b32 v168, a124
	v_mul_f64 v[10:11], v[14:15], v[18:19]
	v_fmac_f64_e32 v[166:167], v[168:169], v[18:19]
	v_fma_f64 v[168:169], v[168:169], v[20:21], -v[10:11]
	s_waitcnt lgkmcnt(12)
	v_mul_f64 v[10:11], v[102:103], v[22:23]
	v_mul_f64 v[170:171], v[102:103], v[24:25]
	v_fma_f64 v[24:25], v[106:107], v[24:25], -v[10:11]
	s_waitcnt lgkmcnt(10)
	v_mul_f64 v[10:11], v[94:95], v[26:27]
	v_fmac_f64_e32 v[170:171], v[106:107], v[22:23]
	v_fma_f64 v[106:107], v[92:93], v[28:29], -v[10:11]
	s_waitcnt lgkmcnt(9)
	v_mul_f64 v[10:11], v[90:91], v[30:31]
	v_mul_f64 v[172:173], v[90:91], v[32:33]
	v_fma_f64 v[32:33], v[88:89], v[32:33], -v[10:11]
	s_waitcnt lgkmcnt(7)
	v_mul_f64 v[174:175], v[110:111], v[38:39]
	v_mul_f64 v[10:11], v[110:111], v[36:37]
	v_fmac_f64_e32 v[174:175], v[108:109], v[36:37]
	v_fma_f64 v[108:109], v[108:109], v[38:39], -v[10:11]
	s_waitcnt lgkmcnt(6)
	v_mul_f64 v[110:111], v[114:115], v[42:43]
	v_mul_f64 v[10:11], v[114:115], v[40:41]
	v_mul_f64 v[102:103], v[94:95], v[28:29]
	v_fmac_f64_e32 v[110:111], v[112:113], v[40:41]
	v_fma_f64 v[42:43], v[112:113], v[42:43], -v[10:11]
	s_waitcnt lgkmcnt(4)
	v_mul_f64 v[112:113], v[94:95], v[46:47]
	v_mul_f64 v[10:11], v[94:95], v[44:45]
	v_fmac_f64_e32 v[102:103], v[92:93], v[26:27]
	v_fmac_f64_e32 v[112:113], v[92:93], v[44:45]
	v_fma_f64 v[92:93], v[92:93], v[46:47], -v[10:11]
	s_waitcnt lgkmcnt(3)
	v_mul_f64 v[10:11], v[90:91], v[48:49]
	v_accvgpr_read_b32 v13, a113
	v_mul_f64 v[94:95], v[90:91], v[50:51]
	v_fma_f64 v[50:51], v[88:89], v[50:51], -v[10:11]
	s_waitcnt lgkmcnt(1)
	v_mul_f64 v[10:11], v[104:105], v[60:61]
	v_fma_f64 v[90:91], v[12:13], v[62:63], -v[10:11]
	v_accvgpr_read_b32 v10, a126
	v_fmac_f64_e32 v[172:173], v[88:89], v[30:31]
	v_fmac_f64_e32 v[94:95], v[88:89], v[48:49]
	v_mul_f64 v[88:89], v[104:105], v[62:63]
	v_accvgpr_read_b32 v11, a127
	v_fmac_f64_e32 v[88:89], v[12:13], v[60:61]
	s_waitcnt lgkmcnt(0)
	v_mul_f64 v[104:105], v[10:11], v[66:67]
	v_mul_f64 v[10:11], v[10:11], v[64:65]
	v_add_f64 v[12:13], v[68:69], v[164:165]
	v_fma_f64 v[66:67], v[100:101], v[66:67], -v[10:11]
	v_add_f64 v[10:11], v[0:1], v[68:69]
	v_fmac_f64_e32 v[0:1], -0.5, v[12:13]
	v_add_f64 v[12:13], v[70:71], -v[16:17]
	v_fma_f64 v[14:15], s[0:1], v[12:13], v[0:1]
	v_fmac_f64_e32 v[0:1], s[8:9], v[12:13]
	v_add_f64 v[12:13], v[2:3], v[70:71]
	v_add_f64 v[12:13], v[12:13], v[16:17]
	v_add_f64 v[16:17], v[70:71], v[16:17]
	v_fmac_f64_e32 v[2:3], -0.5, v[16:17]
	v_add_f64 v[18:19], v[68:69], -v[164:165]
	v_add_f64 v[20:21], v[166:167], v[170:171]
	v_fma_f64 v[16:17], s[8:9], v[18:19], v[2:3]
	v_fmac_f64_e32 v[2:3], s[0:1], v[18:19]
	v_add_f64 v[18:19], v[4:5], v[166:167]
	v_fmac_f64_e32 v[4:5], -0.5, v[20:21]
	v_add_f64 v[20:21], v[168:169], -v[24:25]
	v_fma_f64 v[22:23], s[0:1], v[20:21], v[4:5]
	v_fmac_f64_e32 v[4:5], s[8:9], v[20:21]
	v_add_f64 v[20:21], v[6:7], v[168:169]
	v_add_f64 v[20:21], v[20:21], v[24:25]
	v_add_f64 v[24:25], v[168:169], v[24:25]
	v_fmac_f64_e32 v[6:7], -0.5, v[24:25]
	v_add_f64 v[26:27], v[166:167], -v[170:171]
	v_add_f64 v[28:29], v[102:103], v[172:173]
	v_fma_f64 v[24:25], s[8:9], v[26:27], v[6:7]
	v_fmac_f64_e32 v[6:7], s[0:1], v[26:27]
	;; [unrolled: 13-line block ×4, first 2 shown]
	v_add_f64 v[44:45], v[80:81], v[112:113]
	v_fmac_f64_e32 v[80:81], -0.5, v[46:47]
	v_add_f64 v[46:47], v[92:93], -v[50:51]
	v_fma_f64 v[48:49], s[0:1], v[46:47], v[80:81]
	v_fmac_f64_e32 v[80:81], s[8:9], v[46:47]
	v_add_f64 v[46:47], v[82:83], v[92:93]
	v_fmac_f64_e32 v[104:105], v[100:101], v[64:65]
	v_add_f64 v[46:47], v[46:47], v[50:51]
	v_add_f64 v[50:51], v[92:93], v[50:51]
	;; [unrolled: 1-line block ×3, first 2 shown]
	v_fmac_f64_e32 v[82:83], -0.5, v[50:51]
	v_add_f64 v[60:61], v[112:113], -v[94:95]
	v_add_f64 v[62:63], v[88:89], v[104:105]
	v_accvgpr_read_b32 v35, a128
	v_add_f64 v[18:19], v[18:19], v[170:171]
	v_fma_f64 v[50:51], s[8:9], v[60:61], v[82:83]
	v_fmac_f64_e32 v[82:83], s[0:1], v[60:61]
	v_add_f64 v[60:61], v[84:85], v[88:89]
	v_fmac_f64_e32 v[84:85], -0.5, v[62:63]
	v_add_f64 v[62:63], v[90:91], -v[66:67]
	s_barrier
	ds_write_b128 v35, v[10:13]
	ds_write_b128 v35, v[14:17] offset:512
	ds_write_b128 v35, v[0:3] offset:1024
	v_accvgpr_read_b32 v0, a129
	v_add_f64 v[26:27], v[26:27], v[172:173]
	v_fma_f64 v[64:65], s[0:1], v[62:63], v[84:85]
	v_fmac_f64_e32 v[84:85], s[8:9], v[62:63]
	v_add_f64 v[62:63], v[86:87], v[90:91]
	ds_write_b128 v0, v[18:21]
	ds_write_b128 v0, v[22:25] offset:512
	ds_write_b128 v0, v[4:7] offset:1024
	v_accvgpr_read_b32 v0, a131
	v_add_f64 v[36:37], v[36:37], v[110:111]
	v_add_f64 v[62:63], v[62:63], v[66:67]
	;; [unrolled: 1-line block ×3, first 2 shown]
	ds_write_b128 v0, v[26:29]
	ds_write_b128 v0, v[30:33] offset:512
	ds_write_b128 v0, v[72:75] offset:1024
	v_accvgpr_read_b32 v0, a132
	v_add_f64 v[44:45], v[44:45], v[94:95]
	v_fmac_f64_e32 v[86:87], -0.5, v[66:67]
	v_add_f64 v[68:69], v[88:89], -v[104:105]
	ds_write_b128 v0, v[36:39]
	ds_write_b128 v0, v[40:43] offset:512
	ds_write_b128 v0, v[76:79] offset:1024
	v_accvgpr_read_b32 v0, a134
	v_add_f64 v[60:61], v[60:61], v[104:105]
	v_fma_f64 v[66:67], s[8:9], v[68:69], v[86:87]
	ds_write_b128 v0, v[44:47]
	ds_write_b128 v0, v[48:51] offset:512
	ds_write_b128 v0, v[80:83] offset:1024
	v_accvgpr_read_b32 v0, a135
	v_fmac_f64_e32 v[86:87], s[0:1], v[68:69]
	ds_write_b128 v0, v[60:63]
	ds_write_b128 v0, v[64:67] offset:512
	ds_write_b128 v0, v[84:87] offset:1024
	s_waitcnt lgkmcnt(0)
	s_barrier
	ds_read_b128 v[0:3], v136
	ds_read_b128 v[10:13], v136 offset:10752
	ds_read_b128 v[14:17], v136 offset:21504
	;; [unrolled: 1-line block ×17, first 2 shown]
	s_waitcnt lgkmcnt(14)
	v_mul_f64 v[68:69], v[122:123], v[12:13]
	v_fmac_f64_e32 v[68:69], v[120:121], v[10:11]
	v_mul_f64 v[10:11], v[122:123], v[10:11]
	v_fma_f64 v[70:71], v[120:121], v[12:13], -v[10:11]
	v_mul_f64 v[10:11], v[118:119], v[14:15]
	v_mul_f64 v[80:81], v[118:119], v[16:17]
	v_fma_f64 v[16:17], v[116:117], v[16:17], -v[10:11]
	s_waitcnt lgkmcnt(13)
	v_mul_f64 v[10:11], v[130:131], v[18:19]
	v_fma_f64 v[84:85], v[128:129], v[20:21], -v[10:11]
	s_waitcnt lgkmcnt(12)
	v_mul_f64 v[10:11], v[126:127], v[22:23]
	v_mul_f64 v[86:87], v[126:127], v[24:25]
	v_fma_f64 v[24:25], v[124:125], v[24:25], -v[10:11]
	s_waitcnt lgkmcnt(10)
	v_mul_f64 v[100:101], v[98:99], v[28:29]
	v_mul_f64 v[10:11], v[98:99], v[26:27]
	v_fmac_f64_e32 v[100:101], v[96:97], v[26:27]
	v_fma_f64 v[96:97], v[96:97], v[28:29], -v[10:11]
	s_waitcnt lgkmcnt(9)
	v_mul_f64 v[10:11], v[134:135], v[30:31]
	v_mul_f64 v[98:99], v[134:135], v[32:33]
	v_fma_f64 v[32:33], v[132:133], v[32:33], -v[10:11]
	s_waitcnt lgkmcnt(7)
	v_mul_f64 v[10:11], v[142:143], v[36:37]
	v_fma_f64 v[104:105], v[140:141], v[38:39], -v[10:11]
	s_waitcnt lgkmcnt(6)
	v_mul_f64 v[10:11], v[146:147], v[40:41]
	v_mul_f64 v[106:107], v[146:147], v[42:43]
	v_fma_f64 v[42:43], v[144:145], v[42:43], -v[10:11]
	s_waitcnt lgkmcnt(4)
	v_mul_f64 v[10:11], v[150:151], v[44:45]
	v_fma_f64 v[110:111], v[148:149], v[46:47], -v[10:11]
	s_waitcnt lgkmcnt(3)
	v_mul_f64 v[10:11], v[154:155], v[48:49]
	v_fmac_f64_e32 v[80:81], v[116:117], v[14:15]
	v_mul_f64 v[112:113], v[154:155], v[50:51]
	v_fma_f64 v[50:51], v[152:153], v[50:51], -v[10:11]
	s_waitcnt lgkmcnt(1)
	v_mul_f64 v[114:115], v[158:159], v[62:63]
	v_mul_f64 v[10:11], v[158:159], v[60:61]
	v_fmac_f64_e32 v[114:115], v[156:157], v[60:61]
	v_fma_f64 v[60:61], v[156:157], v[62:63], -v[10:11]
	s_waitcnt lgkmcnt(0)
	v_mul_f64 v[62:63], v[162:163], v[66:67]
	v_mul_f64 v[10:11], v[162:163], v[64:65]
	v_add_f64 v[12:13], v[68:69], v[80:81]
	v_fmac_f64_e32 v[62:63], v[160:161], v[64:65]
	v_fma_f64 v[64:65], v[160:161], v[66:67], -v[10:11]
	v_add_f64 v[10:11], v[0:1], v[68:69]
	v_fmac_f64_e32 v[0:1], -0.5, v[12:13]
	v_add_f64 v[12:13], v[70:71], -v[16:17]
	v_mul_f64 v[82:83], v[130:131], v[20:21]
	v_fma_f64 v[14:15], s[0:1], v[12:13], v[0:1]
	v_fmac_f64_e32 v[0:1], s[8:9], v[12:13]
	v_add_f64 v[12:13], v[2:3], v[70:71]
	v_fmac_f64_e32 v[82:83], v[128:129], v[18:19]
	v_fmac_f64_e32 v[86:87], v[124:125], v[22:23]
	v_add_f64 v[12:13], v[12:13], v[16:17]
	v_add_f64 v[16:17], v[70:71], v[16:17]
	v_fmac_f64_e32 v[2:3], -0.5, v[16:17]
	v_add_f64 v[18:19], v[68:69], -v[80:81]
	v_add_f64 v[20:21], v[82:83], v[86:87]
	v_fma_f64 v[16:17], s[8:9], v[18:19], v[2:3]
	v_fmac_f64_e32 v[2:3], s[0:1], v[18:19]
	v_add_f64 v[18:19], v[4:5], v[82:83]
	v_fmac_f64_e32 v[4:5], -0.5, v[20:21]
	v_add_f64 v[20:21], v[84:85], -v[24:25]
	v_fma_f64 v[22:23], s[0:1], v[20:21], v[4:5]
	v_fmac_f64_e32 v[4:5], s[8:9], v[20:21]
	v_add_f64 v[20:21], v[6:7], v[84:85]
	v_fmac_f64_e32 v[98:99], v[132:133], v[30:31]
	v_add_f64 v[20:21], v[20:21], v[24:25]
	v_add_f64 v[24:25], v[84:85], v[24:25]
	v_fmac_f64_e32 v[6:7], -0.5, v[24:25]
	v_add_f64 v[26:27], v[82:83], -v[86:87]
	v_add_f64 v[28:29], v[100:101], v[98:99]
	v_fma_f64 v[24:25], s[8:9], v[26:27], v[6:7]
	v_fmac_f64_e32 v[6:7], s[0:1], v[26:27]
	v_add_f64 v[26:27], v[88:89], v[100:101]
	v_fmac_f64_e32 v[88:89], -0.5, v[28:29]
	v_add_f64 v[28:29], v[96:97], -v[32:33]
	v_mul_f64 v[102:103], v[142:143], v[38:39]
	v_fma_f64 v[30:31], s[0:1], v[28:29], v[88:89]
	v_fmac_f64_e32 v[88:89], s[8:9], v[28:29]
	v_add_f64 v[28:29], v[90:91], v[96:97]
	v_fmac_f64_e32 v[102:103], v[140:141], v[36:37]
	v_fmac_f64_e32 v[106:107], v[144:145], v[40:41]
	v_add_f64 v[28:29], v[28:29], v[32:33]
	v_add_f64 v[32:33], v[96:97], v[32:33]
	v_fmac_f64_e32 v[90:91], -0.5, v[32:33]
	v_add_f64 v[36:37], v[100:101], -v[98:99]
	v_add_f64 v[38:39], v[102:103], v[106:107]
	v_fma_f64 v[32:33], s[8:9], v[36:37], v[90:91]
	v_fmac_f64_e32 v[90:91], s[0:1], v[36:37]
	v_add_f64 v[36:37], v[92:93], v[102:103]
	v_fmac_f64_e32 v[92:93], -0.5, v[38:39]
	v_add_f64 v[38:39], v[104:105], -v[42:43]
	v_mul_f64 v[108:109], v[150:151], v[46:47]
	v_fma_f64 v[40:41], s[0:1], v[38:39], v[92:93]
	v_fmac_f64_e32 v[92:93], s[8:9], v[38:39]
	v_add_f64 v[38:39], v[94:95], v[104:105]
	v_fmac_f64_e32 v[108:109], v[148:149], v[44:45]
	v_fmac_f64_e32 v[112:113], v[152:153], v[48:49]
	v_add_f64 v[38:39], v[38:39], v[42:43]
	v_add_f64 v[42:43], v[104:105], v[42:43]
	v_fmac_f64_e32 v[94:95], -0.5, v[42:43]
	v_add_f64 v[44:45], v[102:103], -v[106:107]
	v_add_f64 v[46:47], v[108:109], v[112:113]
	v_fma_f64 v[42:43], s[8:9], v[44:45], v[94:95]
	v_fmac_f64_e32 v[94:95], s[0:1], v[44:45]
	v_add_f64 v[44:45], v[72:73], v[108:109]
	v_fmac_f64_e32 v[72:73], -0.5, v[46:47]
	v_add_f64 v[46:47], v[110:111], -v[50:51]
	v_fma_f64 v[48:49], s[0:1], v[46:47], v[72:73]
	v_fmac_f64_e32 v[72:73], s[8:9], v[46:47]
	v_add_f64 v[46:47], v[74:75], v[110:111]
	v_add_f64 v[46:47], v[46:47], v[50:51]
	;; [unrolled: 1-line block ×3, first 2 shown]
	v_fmac_f64_e32 v[74:75], -0.5, v[50:51]
	v_add_f64 v[66:67], v[108:109], -v[112:113]
	v_fma_f64 v[50:51], s[8:9], v[66:67], v[74:75]
	v_fmac_f64_e32 v[74:75], s[0:1], v[66:67]
	v_add_f64 v[66:67], v[76:77], v[114:115]
	v_add_f64 v[10:11], v[10:11], v[80:81]
	;; [unrolled: 1-line block ×4, first 2 shown]
	v_fmac_f64_e32 v[76:77], -0.5, v[66:67]
	v_add_f64 v[66:67], v[60:61], -v[64:65]
	v_accvgpr_read_b32 v35, a136
	v_add_f64 v[18:19], v[18:19], v[86:87]
	v_fma_f64 v[84:85], s[0:1], v[66:67], v[76:77]
	v_fmac_f64_e32 v[76:77], s[8:9], v[66:67]
	v_add_f64 v[66:67], v[78:79], v[60:61]
	v_add_f64 v[60:61], v[60:61], v[64:65]
	s_barrier
	ds_write_b128 v35, v[10:13]
	ds_write_b128 v35, v[14:17] offset:1536
	ds_write_b128 v35, v[0:3] offset:3072
	v_accvgpr_read_b32 v0, a137
	v_add_f64 v[26:27], v[26:27], v[98:99]
	v_fmac_f64_e32 v[78:79], -0.5, v[60:61]
	v_add_f64 v[60:61], v[114:115], -v[62:63]
	ds_write_b128 v0, v[18:21]
	ds_write_b128 v0, v[22:25] offset:1536
	ds_write_b128 v0, v[4:7] offset:3072
	v_accvgpr_read_b32 v0, a146
	v_add_f64 v[36:37], v[36:37], v[106:107]
	v_add_f64 v[44:45], v[44:45], v[112:113]
	;; [unrolled: 1-line block ×3, first 2 shown]
	v_fma_f64 v[86:87], s[8:9], v[60:61], v[78:79]
	v_fmac_f64_e32 v[78:79], s[0:1], v[60:61]
	ds_write_b128 v0, v[26:29]
	ds_write_b128 v0, v[30:33] offset:1536
	ds_write_b128 v0, v[88:91] offset:3072
	ds_write_b128 v138, v[36:39]
	ds_write_b128 v138, v[40:43] offset:1536
	ds_write_b128 v138, v[92:95] offset:3072
	;; [unrolled: 3-line block ×4, first 2 shown]
	s_waitcnt lgkmcnt(0)
	s_barrier
	ds_read_b128 v[4:7], v136
	ds_read_b128 v[132:135], v136 offset:4608
	ds_read_b128 v[128:131], v136 offset:9216
	;; [unrolled: 1-line block ×13, first 2 shown]
	s_and_saveexec_b64 s[0:1], vcc
	s_cbranch_execz .LBB0_7
; %bb.6:
	ds_read_b128 v[72:75], v136 offset:3584
	ds_read_b128 v[80:83], v136 offset:8192
	;; [unrolled: 1-line block ×7, first 2 shown]
.LBB0_7:
	s_or_b64 exec, exec, s[0:1]
	s_waitcnt lgkmcnt(12)
	v_mul_f64 v[10:11], v[186:187], v[134:135]
	s_waitcnt lgkmcnt(11)
	v_mul_f64 v[14:15], v[194:195], v[130:131]
	;; [unrolled: 2-line block ×4, first 2 shown]
	v_fmac_f64_e32 v[10:11], v[184:185], v[132:133]
	v_mul_f64 v[12:13], v[186:187], v[132:133]
	v_fmac_f64_e32 v[14:15], v[192:193], v[128:129]
	v_mul_f64 v[16:17], v[194:195], v[128:129]
	v_mul_f64 v[18:19], v[190:191], v[126:127]
	v_mul_f64 v[22:23], v[182:183], v[114:115]
	v_fmac_f64_e32 v[26:27], v[204:205], v[100:101]
	v_mul_f64 v[28:29], v[206:207], v[100:101]
	v_fmac_f64_e32 v[30:31], v[208:209], v[88:89]
	v_mul_f64 v[32:33], v[210:211], v[88:89]
	v_fma_f64 v[12:13], v[184:185], v[134:135], -v[12:13]
	v_fma_f64 v[16:17], v[192:193], v[130:131], -v[16:17]
	v_fmac_f64_e32 v[18:19], v[188:189], v[124:125]
	v_mul_f64 v[20:21], v[190:191], v[124:125]
	v_fmac_f64_e32 v[22:23], v[180:181], v[112:113]
	v_mul_f64 v[24:25], v[182:183], v[112:113]
	v_fma_f64 v[28:29], v[204:205], v[102:103], -v[28:29]
	v_fma_f64 v[32:33], v[208:209], v[90:91], -v[32:33]
	v_add_f64 v[68:69], v[10:11], v[30:31]
	v_add_f64 v[10:11], v[10:11], -v[30:31]
	v_add_f64 v[30:31], v[14:15], v[26:27]
	v_fma_f64 v[20:21], v[188:189], v[126:127], -v[20:21]
	v_fma_f64 v[24:25], v[180:181], v[114:115], -v[24:25]
	v_add_f64 v[70:71], v[12:13], v[32:33]
	v_add_f64 v[12:13], v[12:13], -v[32:33]
	v_add_f64 v[32:33], v[16:17], v[28:29]
	v_add_f64 v[14:15], v[14:15], -v[26:27]
	v_add_f64 v[26:27], v[18:19], v[22:23]
	v_add_f64 v[18:19], v[22:23], -v[18:19]
	v_add_f64 v[22:23], v[30:31], v[68:69]
	v_add_f64 v[16:17], v[16:17], -v[28:29]
	v_add_f64 v[28:29], v[20:21], v[24:25]
	v_add_f64 v[20:21], v[24:25], -v[20:21]
	v_add_f64 v[24:25], v[32:33], v[70:71]
	v_add_f64 v[22:23], v[26:27], v[22:23]
	;; [unrolled: 1-line block ×4, first 2 shown]
	s_mov_b32 s12, 0x36b3c0b5
	s_mov_b32 s22, 0xaaaaaaaa
	s_waitcnt lgkmcnt(1)
	v_mul_f64 v[60:61], v[234:235], v[98:99]
	v_mul_f64 v[62:63], v[234:235], v[96:97]
	s_waitcnt lgkmcnt(0)
	v_mul_f64 v[64:65], v[230:231], v[94:95]
	v_mul_f64 v[66:67], v[230:231], v[92:93]
	v_add_f64 v[88:89], v[30:31], -v[68:69]
	v_add_f64 v[90:91], v[32:33], -v[70:71]
	;; [unrolled: 1-line block ×6, first 2 shown]
	v_add_f64 v[6:7], v[6:7], v[24:25]
	s_mov_b32 s13, 0x3fac98ee
	s_mov_b32 s14, 0xe976ee23
	;; [unrolled: 1-line block ×4, first 2 shown]
	v_mov_b64_e32 v[100:101], v[4:5]
	s_mov_b32 s8, 0x5476071b
	v_mul_f64 v[36:37], v[222:223], v[122:123]
	v_mul_f64 v[40:41], v[226:227], v[118:119]
	v_fmac_f64_e32 v[60:61], v[232:233], v[96:97]
	v_fma_f64 v[62:63], v[232:233], v[98:99], -v[62:63]
	v_fmac_f64_e32 v[64:65], v[228:229], v[92:93]
	v_fma_f64 v[66:67], v[228:229], v[94:95], -v[66:67]
	v_add_f64 v[92:93], v[18:19], v[14:15]
	v_add_f64 v[94:95], v[20:21], v[16:17]
	v_add_f64 v[96:97], v[18:19], -v[14:15]
	v_add_f64 v[98:99], v[20:21], -v[16:17]
	v_add_f64 v[14:15], v[14:15], -v[10:11]
	v_add_f64 v[16:17], v[16:17], -v[12:13]
	v_mul_f64 v[26:27], v[68:69], s[10:11]
	v_mul_f64 v[28:29], v[70:71], s[10:11]
	;; [unrolled: 1-line block ×4, first 2 shown]
	s_mov_b32 s15, 0x3fe11646
	s_mov_b32 s1, 0xbfebfeb5
	v_fmac_f64_e32 v[100:101], s[22:23], v[22:23]
	v_mov_b64_e32 v[22:23], v[6:7]
	s_mov_b32 s9, 0x3fe77f67
	s_mov_b32 s17, 0xbfe77f67
	;; [unrolled: 1-line block ×4, first 2 shown]
	v_fmac_f64_e32 v[36:37], v[220:221], v[120:121]
	v_mul_f64 v[38:39], v[222:223], v[120:121]
	v_fmac_f64_e32 v[40:41], v[224:225], v[116:117]
	v_mul_f64 v[42:43], v[226:227], v[116:117]
	v_mul_f64 v[44:45], v[218:219], v[110:111]
	;; [unrolled: 1-line block ×3, first 2 shown]
	v_add_f64 v[18:19], v[10:11], -v[18:19]
	v_add_f64 v[20:21], v[12:13], -v[20:21]
	v_add_f64 v[10:11], v[92:93], v[10:11]
	v_add_f64 v[12:13], v[94:95], v[12:13]
	v_mul_f64 v[92:93], v[96:97], s[14:15]
	v_mul_f64 v[94:95], v[98:99], s[14:15]
	;; [unrolled: 1-line block ×4, first 2 shown]
	v_fmac_f64_e32 v[22:23], s[22:23], v[24:25]
	v_fma_f64 v[24:25], v[88:89], s[8:9], -v[68:69]
	v_fma_f64 v[68:69], v[90:91], s[8:9], -v[70:71]
	;; [unrolled: 1-line block ×3, first 2 shown]
	v_fmac_f64_e32 v[26:27], s[12:13], v[30:31]
	s_mov_b32 s25, 0xbfd5d0dc
	s_mov_b32 s21, 0x3fd5d0dc
	;; [unrolled: 1-line block ×3, first 2 shown]
	v_fma_f64 v[38:39], v[220:221], v[122:123], -v[38:39]
	v_fma_f64 v[42:43], v[224:225], v[118:119], -v[42:43]
	v_fmac_f64_e32 v[44:45], v[216:217], v[108:109]
	v_mul_f64 v[46:47], v[218:219], v[108:109]
	v_fmac_f64_e32 v[48:49], v[212:213], v[104:105]
	v_mul_f64 v[50:51], v[214:215], v[104:105]
	v_fma_f64 v[30:31], v[90:91], s[16:17], -v[28:29]
	v_fmac_f64_e32 v[28:29], s[12:13], v[32:33]
	v_fma_f64 v[90:91], v[18:19], s[20:21], -v[96:97]
	v_fma_f64 v[96:97], v[20:21], s[20:21], -v[98:99]
	v_add_f64 v[98:99], v[26:27], v[100:101]
	v_add_f64 v[26:27], v[68:69], v[22:23]
	;; [unrolled: 1-line block ×3, first 2 shown]
	v_add_f64 v[36:37], v[36:37], -v[64:65]
	v_add_f64 v[64:65], v[40:41], v[60:61]
	v_fma_f64 v[46:47], v[216:217], v[110:111], -v[46:47]
	v_fma_f64 v[50:51], v[212:213], v[106:107], -v[50:51]
	v_add_f64 v[102:103], v[28:29], v[22:23]
	v_add_f64 v[28:29], v[70:71], v[100:101]
	s_mov_b32 s18, 0x37c3f68c
	v_add_f64 v[70:71], v[38:39], v[66:67]
	v_add_f64 v[38:39], v[38:39], -v[66:67]
	v_add_f64 v[66:67], v[42:43], v[62:63]
	v_add_f64 v[40:41], v[40:41], -v[60:61]
	;; [unrolled: 2-line block ×3, first 2 shown]
	v_add_f64 v[48:49], v[64:65], v[68:69]
	v_fma_f64 v[32:33], v[14:15], s[0:1], -v[92:93]
	v_fmac_f64_e32 v[92:93], s[24:25], v[18:19]
	v_fma_f64 v[88:89], v[16:17], s[0:1], -v[94:95]
	v_fmac_f64_e32 v[94:95], s[24:25], v[20:21]
	s_mov_b32 s19, 0xbfdc38aa
	v_add_f64 v[42:43], v[42:43], -v[62:63]
	v_add_f64 v[62:63], v[46:47], v[50:51]
	v_add_f64 v[46:47], v[50:51], -v[46:47]
	v_add_f64 v[50:51], v[66:67], v[70:71]
	v_add_f64 v[48:49], v[60:61], v[48:49]
	;; [unrolled: 1-line block ×4, first 2 shown]
	v_fmac_f64_e32 v[92:93], s[18:19], v[10:11]
	v_fmac_f64_e32 v[94:95], s[18:19], v[12:13]
	;; [unrolled: 1-line block ×6, first 2 shown]
	v_add_f64 v[50:51], v[62:63], v[50:51]
	v_add_f64 v[0:1], v[0:1], v[48:49]
	;; [unrolled: 1-line block ×3, first 2 shown]
	v_add_f64 v[12:13], v[102:103], -v[92:93]
	v_add_f64 v[14:15], v[96:97], v[28:29]
	v_add_f64 v[16:17], v[30:31], -v[90:91]
	v_add_f64 v[18:19], v[24:25], -v[88:89]
	v_add_f64 v[20:21], v[32:33], v[26:27]
	v_add_f64 v[22:23], v[88:89], v[24:25]
	v_add_f64 v[24:25], v[26:27], -v[32:33]
	v_add_f64 v[26:27], v[28:29], -v[96:97]
	v_add_f64 v[28:29], v[90:91], v[30:31]
	v_add_f64 v[30:31], v[98:99], -v[94:95]
	v_add_f64 v[32:33], v[92:93], v[102:103]
	v_add_f64 v[88:89], v[64:65], -v[68:69]
	v_add_f64 v[90:91], v[66:67], -v[70:71]
	v_add_f64 v[68:69], v[68:69], -v[60:61]
	v_add_f64 v[70:71], v[70:71], -v[62:63]
	v_add_f64 v[64:65], v[60:61], -v[64:65]
	v_add_f64 v[66:67], v[62:63], -v[66:67]
	v_add_f64 v[92:93], v[44:45], v[40:41]
	v_add_f64 v[94:95], v[46:47], v[42:43]
	v_add_f64 v[96:97], v[44:45], -v[40:41]
	v_add_f64 v[98:99], v[46:47], -v[42:43]
	;; [unrolled: 1-line block ×4, first 2 shown]
	v_add_f64 v[2:3], v[2:3], v[50:51]
	v_mov_b64_e32 v[100:101], v[0:1]
	v_add_f64 v[44:45], v[36:37], -v[44:45]
	v_add_f64 v[46:47], v[38:39], -v[46:47]
	v_add_f64 v[36:37], v[92:93], v[36:37]
	v_add_f64 v[38:39], v[94:95], v[38:39]
	v_mul_f64 v[60:61], v[68:69], s[10:11]
	v_mul_f64 v[62:63], v[70:71], s[10:11]
	;; [unrolled: 1-line block ×8, first 2 shown]
	v_fmac_f64_e32 v[100:101], s[22:23], v[48:49]
	v_mov_b64_e32 v[48:49], v[2:3]
	v_fmac_f64_e32 v[48:49], s[22:23], v[50:51]
	v_fma_f64 v[50:51], v[88:89], s[8:9], -v[68:69]
	v_fma_f64 v[68:69], v[90:91], s[8:9], -v[70:71]
	;; [unrolled: 1-line block ×3, first 2 shown]
	v_fmac_f64_e32 v[60:61], s[12:13], v[64:65]
	v_fma_f64 v[64:65], v[90:91], s[16:17], -v[62:63]
	v_fmac_f64_e32 v[62:63], s[12:13], v[66:67]
	v_fma_f64 v[66:67], v[40:41], s[0:1], -v[92:93]
	;; [unrolled: 2-line block ×4, first 2 shown]
	v_fma_f64 v[96:97], v[46:47], s[20:21], -v[98:99]
	v_add_f64 v[98:99], v[60:61], v[100:101]
	v_add_f64 v[102:103], v[62:63], v[48:49]
	;; [unrolled: 1-line block ×6, first 2 shown]
	v_fmac_f64_e32 v[92:93], s[18:19], v[36:37]
	v_fmac_f64_e32 v[94:95], s[18:19], v[38:39]
	;; [unrolled: 1-line block ×6, first 2 shown]
	v_add_f64 v[36:37], v[94:95], v[98:99]
	v_add_f64 v[38:39], v[102:103], -v[92:93]
	v_add_f64 v[40:41], v[96:97], v[62:63]
	v_add_f64 v[42:43], v[64:65], -v[90:91]
	v_add_f64 v[44:45], v[50:51], -v[88:89]
	v_add_f64 v[46:47], v[66:67], v[60:61]
	v_add_f64 v[48:49], v[88:89], v[50:51]
	v_add_f64 v[50:51], v[60:61], -v[66:67]
	v_add_f64 v[60:61], v[62:63], -v[96:97]
	v_add_f64 v[62:63], v[90:91], v[64:65]
	v_add_f64 v[64:65], v[98:99], -v[94:95]
	v_add_f64 v[66:67], v[92:93], v[102:103]
	ds_write_b128 v136, v[4:7]
	ds_write_b128 v34, v[10:13] offset:4608
	ds_write_b128 v34, v[14:17] offset:9216
	;; [unrolled: 1-line block ×13, first 2 shown]
	s_and_saveexec_b64 s[26:27], vcc
	s_cbranch_execz .LBB0_9
; %bb.8:
	v_accvgpr_read_b32 v36, a148
	v_accvgpr_read_b32 v46, a138
	;; [unrolled: 1-line block ×16, first 2 shown]
	v_mul_f64 v[0:1], v[38:39], v[82:83]
	v_mul_f64 v[4:5], v[202:203], v[58:59]
	v_accvgpr_read_b32 v47, a139
	v_mul_f64 v[12:13], v[48:49], v[238:239]
	v_accvgpr_read_b32 v61, a143
	;; [unrolled: 2-line block ×4, first 2 shown]
	v_mul_f64 v[20:21], v[66:67], v[54:55]
	v_fmac_f64_e32 v[0:1], v[36:37], v[80:81]
	v_fmac_f64_e32 v[4:5], v[200:201], v[56:57]
	;; [unrolled: 1-line block ×6, first 2 shown]
	v_add_f64 v[10:11], v[0:1], -v[4:5]
	v_add_f64 v[2:3], v[12:13], -v[14:15]
	;; [unrolled: 1-line block ×5, first 2 shown]
	v_add_f64 v[2:3], v[2:3], v[22:23]
	v_add_f64 v[28:29], v[2:3], v[10:11]
	v_mul_f64 v[2:3], v[202:203], v[56:57]
	v_fma_f64 v[30:31], v[200:201], v[58:59], -v[2:3]
	v_mul_f64 v[2:3], v[38:39], v[80:81]
	v_fma_f64 v[32:33], v[36:37], v[82:83], -v[2:3]
	v_mul_f64 v[2:3], v[66:67], v[52:53]
	v_mul_f64 v[24:25], v[6:7], s[14:15]
	v_fma_f64 v[38:39], v[64:65], v[54:55], -v[2:3]
	v_mul_f64 v[2:3], v[42:43], v[84:85]
	v_mul_f64 v[6:7], v[62:63], v[76:77]
	v_fma_f64 v[40:41], v[40:41], v[86:87], -v[2:3]
	v_fma_f64 v[44:45], v[60:61], v[78:79], -v[6:7]
	v_mul_f64 v[6:7], v[48:49], v[236:237]
	v_add_f64 v[56:57], v[0:1], v[4:5]
	v_add_f64 v[18:19], v[18:19], v[20:21]
	;; [unrolled: 1-line block ×4, first 2 shown]
	v_fma_f64 v[46:47], v[46:47], v[238:239], -v[6:7]
	v_add_f64 v[0:1], v[18:19], v[56:57]
	v_add_f64 v[4:5], v[14:15], v[12:13]
	v_add_f64 v[2:3], v[42:43], v[36:37]
	v_add_f64 v[6:7], v[44:45], v[46:47]
	v_add_f64 v[12:13], v[4:5], v[0:1]
	v_add_f64 v[48:49], v[6:7], v[2:3]
	v_add_f64 v[0:1], v[72:73], v[12:13]
	v_add_f64 v[2:3], v[74:75], v[48:49]
	v_mov_b64_e32 v[14:15], v[0:1]
	v_mov_b64_e32 v[50:51], v[2:3]
	v_fmac_f64_e32 v[14:15], s[22:23], v[12:13]
	v_add_f64 v[12:13], v[56:57], -v[4:5]
	v_add_f64 v[22:23], v[22:23], -v[10:11]
	v_fmac_f64_e32 v[50:51], s[22:23], v[48:49]
	v_add_f64 v[48:49], v[36:37], -v[6:7]
	v_mul_f64 v[20:21], v[12:13], s[10:11]
	v_add_f64 v[4:5], v[4:5], -v[18:19]
	v_mul_f64 v[10:11], v[22:23], s[0:1]
	v_fma_f64 v[26:27], s[24:25], v[16:17], v[24:25]
	v_mul_f64 v[48:49], v[48:49], s[10:11]
	v_mul_f64 v[58:59], v[4:5], s[12:13]
	v_fma_f64 v[4:5], s[12:13], v[4:5], v[20:21]
	v_fma_f64 v[62:63], v[16:17], s[20:21], -v[10:11]
	v_add_f64 v[16:17], v[42:43], -v[36:37]
	v_add_f64 v[60:61], v[4:5], v[14:15]
	v_add_f64 v[30:31], v[32:33], -v[30:31]
	v_add_f64 v[4:5], v[46:47], -v[44:45]
	;; [unrolled: 1-line block ×3, first 2 shown]
	v_fma_f64 v[10:11], v[16:17], s[16:17], -v[48:49]
	v_add_f64 v[18:19], v[18:19], -v[56:57]
	v_add_f64 v[6:7], v[6:7], -v[42:43]
	;; [unrolled: 1-line block ×3, first 2 shown]
	v_add_f64 v[36:37], v[10:11], v[50:51]
	v_fma_f64 v[10:11], v[18:19], s[16:17], -v[20:21]
	v_add_f64 v[20:21], v[38:39], -v[30:31]
	v_mul_f64 v[52:53], v[6:7], s[12:13]
	v_add_f64 v[32:33], v[30:31], -v[4:5]
	v_mul_f64 v[40:41], v[12:13], s[14:15]
	v_add_f64 v[4:5], v[4:5], v[38:39]
	v_add_f64 v[42:43], v[10:11], v[14:15]
	v_mul_f64 v[10:11], v[20:21], s[0:1]
	v_fma_f64 v[6:7], s[12:13], v[6:7], v[48:49]
	v_fma_f64 v[44:45], s[24:25], v[32:33], v[40:41]
	v_add_f64 v[46:47], v[4:5], v[30:31]
	v_fma_f64 v[30:31], v[32:33], s[20:21], -v[10:11]
	v_fma_f64 v[16:17], v[16:17], s[8:9], -v[52:53]
	;; [unrolled: 1-line block ×5, first 2 shown]
	v_fmac_f64_e32 v[26:27], s[18:19], v[28:29]
	v_add_f64 v[54:55], v[6:7], v[50:51]
	v_fmac_f64_e32 v[44:45], s[18:19], v[46:47]
	v_fmac_f64_e32 v[62:63], s[18:19], v[28:29]
	;; [unrolled: 1-line block ×3, first 2 shown]
	v_add_f64 v[32:33], v[16:17], v[50:51]
	v_fmac_f64_e32 v[22:23], s[18:19], v[28:29]
	v_add_f64 v[18:19], v[18:19], v[14:15]
	v_fmac_f64_e32 v[24:25], s[18:19], v[46:47]
	v_add_f64 v[6:7], v[26:27], v[54:55]
	v_add_f64 v[4:5], v[60:61], -v[44:45]
	v_add_f64 v[12:13], v[62:63], v[36:37]
	v_add_f64 v[10:11], v[42:43], -v[30:31]
	v_add_f64 v[16:17], v[32:33], -v[22:23]
	v_add_f64 v[14:15], v[24:25], v[18:19]
	v_add_f64 v[20:21], v[22:23], v[32:33]
	v_add_f64 v[18:19], v[18:19], -v[24:25]
	v_add_f64 v[24:25], v[36:37], -v[62:63]
	v_add_f64 v[22:23], v[30:31], v[42:43]
	v_add_f64 v[28:29], v[54:55], -v[26:27]
	v_add_f64 v[26:27], v[44:45], v[60:61]
	ds_write_b128 v136, v[0:3] offset:3584
	ds_write_b128 v34, v[26:29] offset:8192
	;; [unrolled: 1-line block ×7, first 2 shown]
.LBB0_9:
	s_or_b64 exec, exec, s[26:27]
	s_waitcnt lgkmcnt(0)
	s_barrier
	ds_read_b128 v[4:7], v136
	v_accvgpr_read_b32 v2, a28
	v_mad_u64_u32 v[16:17], s[0:1], s6, v2, 0
	v_mov_b32_e32 v0, v17
	v_accvgpr_read_b32 v18, a24
	v_mad_u64_u32 v[0:1], s[0:1], s7, v2, v[0:1]
	v_accvgpr_read_b32 v20, a26
	v_accvgpr_read_b32 v21, a27
	v_mov_b32_e32 v17, v0
	ds_read_b128 v[0:3], v136 offset:1792
	v_accvgpr_read_b32 v19, a25
	s_waitcnt lgkmcnt(1)
	v_mul_f64 v[12:13], v[20:21], v[6:7]
	v_fmac_f64_e32 v[12:13], v[18:19], v[4:5]
	s_mov_b32 s0, 0x10410410
	v_mul_f64 v[4:5], v[20:21], v[4:5]
	v_mov_b32_e32 v10, s2
	v_mov_b32_e32 v11, s3
	s_mov_b32 s1, 0x3f404104
	v_fma_f64 v[4:5], v[18:19], v[6:7], -v[4:5]
	v_mad_u64_u32 v[18:19], s[2:3], s4, v8, 0
	v_mul_f64 v[14:15], v[4:5], s[0:1]
	v_mov_b32_e32 v4, v19
	v_mad_u64_u32 v[4:5], s[2:3], s5, v8, v[4:5]
	v_mov_b32_e32 v19, v4
	ds_read_b128 v[4:7], v136 offset:16128
	v_lshl_add_u64 v[8:9], v[16:17], 4, v[10:11]
	v_lshl_add_u64 v[10:11], v[18:19], 4, v[8:9]
	v_accvgpr_read_b32 v21, a3
	v_mul_f64 v[12:13], v[12:13], s[0:1]
	v_accvgpr_read_b32 v20, a2
	global_store_dwordx4 v[10:11], v[12:15], off
	ds_read_b128 v[12:15], v136 offset:14336
	v_accvgpr_read_b32 v19, a1
	v_accvgpr_read_b32 v18, a0
	s_waitcnt lgkmcnt(1)
	v_mul_f64 v[16:17], v[20:21], v[6:7]
	v_fmac_f64_e32 v[16:17], v[18:19], v[4:5]
	v_mul_f64 v[4:5], v[20:21], v[4:5]
	v_mov_b32_e32 v24, 0x3f00
	v_fma_f64 v[4:5], v[18:19], v[6:7], -v[4:5]
	v_mad_u64_u32 v[10:11], s[2:3], s4, v24, v[10:11]
	s_mul_i32 s6, s5, 0x3f00
	v_mul_f64 v[16:17], v[16:17], s[0:1]
	v_mul_f64 v[18:19], v[4:5], s[0:1]
	v_add_u32_e32 v11, s6, v11
	global_store_dwordx4 v[10:11], v[16:19], off
	v_mov_b32_e32 v25, 0xffffc800
	v_mad_u64_u32 v[10:11], s[2:3], s4, v25, v[10:11]
	v_accvgpr_read_b32 v19, a7
	v_accvgpr_read_b32 v18, a6
	;; [unrolled: 1-line block ×4, first 2 shown]
	v_mul_f64 v[4:5], v[18:19], v[2:3]
	v_fmac_f64_e32 v[4:5], v[16:17], v[0:1]
	v_mul_f64 v[0:1], v[18:19], v[0:1]
	v_fma_f64 v[0:1], v[16:17], v[2:3], -v[0:1]
	v_mul_f64 v[6:7], v[0:1], s[0:1]
	ds_read_b128 v[0:3], v136 offset:17920
	s_mul_i32 s2, s5, 0xffffc800
	s_sub_i32 s7, s2, s4
	v_accvgpr_read_b32 v21, a11
	v_mul_f64 v[4:5], v[4:5], s[0:1]
	v_add_u32_e32 v11, s7, v11
	v_accvgpr_read_b32 v20, a10
	global_store_dwordx4 v[10:11], v[4:7], off
	ds_read_b128 v[4:7], v136 offset:19712
	v_accvgpr_read_b32 v19, a9
	v_accvgpr_read_b32 v18, a8
	s_waitcnt lgkmcnt(1)
	v_mul_f64 v[16:17], v[20:21], v[2:3]
	v_fmac_f64_e32 v[16:17], v[18:19], v[0:1]
	v_mul_f64 v[0:1], v[20:21], v[0:1]
	v_fma_f64 v[0:1], v[18:19], v[2:3], -v[0:1]
	v_mul_f64 v[18:19], v[0:1], s[0:1]
	ds_read_b128 v[0:3], v136 offset:3584
	v_mad_u64_u32 v[10:11], s[2:3], s4, v24, v[10:11]
	v_accvgpr_read_b32 v29, a19
	v_mul_f64 v[16:17], v[16:17], s[0:1]
	v_add_u32_e32 v11, s6, v11
	v_accvgpr_read_b32 v28, a18
	global_store_dwordx4 v[10:11], v[16:19], off
	ds_read_b128 v[16:19], v136 offset:5376
	v_accvgpr_read_b32 v27, a17
	v_accvgpr_read_b32 v26, a16
	s_waitcnt lgkmcnt(1)
	v_mul_f64 v[20:21], v[28:29], v[2:3]
	v_fmac_f64_e32 v[20:21], v[26:27], v[0:1]
	v_mul_f64 v[0:1], v[28:29], v[0:1]
	v_fma_f64 v[0:1], v[26:27], v[2:3], -v[0:1]
	v_mad_u64_u32 v[10:11], s[2:3], s4, v25, v[10:11]
	v_mul_f64 v[20:21], v[20:21], s[0:1]
	v_mul_f64 v[22:23], v[0:1], s[0:1]
	v_add_u32_e32 v11, s7, v11
	global_store_dwordx4 v[10:11], v[20:23], off
	v_mad_u64_u32 v[10:11], s[2:3], s4, v24, v[10:11]
	s_nop 0
	v_accvgpr_read_b32 v23, a15
	v_accvgpr_read_b32 v22, a14
	;; [unrolled: 1-line block ×4, first 2 shown]
	v_mul_f64 v[0:1], v[22:23], v[6:7]
	v_mul_f64 v[2:3], v[22:23], v[4:5]
	v_fmac_f64_e32 v[0:1], v[20:21], v[4:5]
	v_fma_f64 v[2:3], v[20:21], v[6:7], -v[2:3]
	v_accvgpr_read_b32 v4, a72
	v_mul_f64 v[0:1], v[0:1], s[0:1]
	v_mul_f64 v[2:3], v[2:3], s[0:1]
	v_add_u32_e32 v11, s6, v11
	v_accvgpr_read_b32 v6, a74
	v_accvgpr_read_b32 v7, a75
	global_store_dwordx4 v[10:11], v[0:3], off
	v_accvgpr_read_b32 v5, a73
	v_mad_u64_u32 v[10:11], s[2:3], s4, v25, v[10:11]
	s_waitcnt lgkmcnt(0)
	v_mul_f64 v[0:1], v[6:7], v[18:19]
	v_mul_f64 v[2:3], v[6:7], v[16:17]
	v_fmac_f64_e32 v[0:1], v[4:5], v[16:17]
	v_fma_f64 v[2:3], v[4:5], v[18:19], -v[2:3]
	ds_read_b128 v[4:7], v136 offset:21504
	v_accvgpr_read_b32 v18, a64
	v_mul_f64 v[0:1], v[0:1], s[0:1]
	v_mul_f64 v[2:3], v[2:3], s[0:1]
	v_add_u32_e32 v11, s7, v11
	v_accvgpr_read_b32 v20, a66
	v_accvgpr_read_b32 v21, a67
	global_store_dwordx4 v[10:11], v[0:3], off
	ds_read_b128 v[0:3], v136 offset:23296
	v_accvgpr_read_b32 v19, a65
	s_waitcnt lgkmcnt(1)
	v_mul_f64 v[16:17], v[20:21], v[6:7]
	v_fmac_f64_e32 v[16:17], v[18:19], v[4:5]
	v_mul_f64 v[4:5], v[20:21], v[4:5]
	v_fma_f64 v[4:5], v[18:19], v[6:7], -v[4:5]
	v_mul_f64 v[18:19], v[4:5], s[0:1]
	ds_read_b128 v[4:7], v136 offset:7168
	v_mad_u64_u32 v[10:11], s[2:3], s4, v24, v[10:11]
	v_accvgpr_read_b32 v26, a48
	v_mul_f64 v[16:17], v[16:17], s[0:1]
	v_add_u32_e32 v11, s6, v11
	v_accvgpr_read_b32 v28, a50
	v_accvgpr_read_b32 v29, a51
	global_store_dwordx4 v[10:11], v[16:19], off
	ds_read_b128 v[16:19], v136 offset:8960
	v_accvgpr_read_b32 v27, a49
	s_waitcnt lgkmcnt(1)
	v_mul_f64 v[20:21], v[28:29], v[6:7]
	v_fmac_f64_e32 v[20:21], v[26:27], v[4:5]
	v_mul_f64 v[4:5], v[28:29], v[4:5]
	v_fma_f64 v[4:5], v[26:27], v[6:7], -v[4:5]
	v_mad_u64_u32 v[10:11], s[2:3], s4, v25, v[10:11]
	v_mul_f64 v[20:21], v[20:21], s[0:1]
	v_mul_f64 v[22:23], v[4:5], s[0:1]
	v_add_u32_e32 v11, s7, v11
	global_store_dwordx4 v[10:11], v[20:23], off
	v_mad_u64_u32 v[10:11], s[2:3], s4, v24, v[10:11]
	s_nop 0
	v_accvgpr_read_b32 v20, a44
	v_accvgpr_read_b32 v22, a46
	;; [unrolled: 1-line block ×4, first 2 shown]
	v_mul_f64 v[4:5], v[22:23], v[2:3]
	v_fmac_f64_e32 v[4:5], v[20:21], v[0:1]
	v_mul_f64 v[0:1], v[22:23], v[0:1]
	v_fma_f64 v[0:1], v[20:21], v[2:3], -v[0:1]
	v_mul_f64 v[4:5], v[4:5], s[0:1]
	v_mul_f64 v[6:7], v[0:1], s[0:1]
	v_add_u32_e32 v11, s6, v11
	global_store_dwordx4 v[10:11], v[4:7], off
	v_mad_u64_u32 v[10:11], s[2:3], s4, v25, v[10:11]
	s_nop 0
	v_accvgpr_read_b32 v4, a60
	v_accvgpr_read_b32 v6, a62
	;; [unrolled: 1-line block ×4, first 2 shown]
	s_waitcnt lgkmcnt(0)
	v_mul_f64 v[0:1], v[6:7], v[18:19]
	v_mul_f64 v[2:3], v[6:7], v[16:17]
	v_fmac_f64_e32 v[0:1], v[4:5], v[16:17]
	v_fma_f64 v[2:3], v[4:5], v[18:19], -v[2:3]
	ds_read_b128 v[4:7], v136 offset:25088
	v_accvgpr_read_b32 v18, a52
	v_mul_f64 v[0:1], v[0:1], s[0:1]
	v_mul_f64 v[2:3], v[2:3], s[0:1]
	v_add_u32_e32 v11, s7, v11
	v_accvgpr_read_b32 v20, a54
	v_accvgpr_read_b32 v21, a55
	global_store_dwordx4 v[10:11], v[0:3], off
	ds_read_b128 v[0:3], v136 offset:26880
	v_accvgpr_read_b32 v19, a53
	s_waitcnt lgkmcnt(1)
	v_mul_f64 v[16:17], v[20:21], v[6:7]
	v_fmac_f64_e32 v[16:17], v[18:19], v[4:5]
	v_mul_f64 v[4:5], v[20:21], v[4:5]
	v_fma_f64 v[4:5], v[18:19], v[6:7], -v[4:5]
	v_mul_f64 v[18:19], v[4:5], s[0:1]
	ds_read_b128 v[4:7], v136 offset:10752
	v_mad_u64_u32 v[10:11], s[2:3], s4, v24, v[10:11]
	v_accvgpr_read_b32 v26, a40
	v_mul_f64 v[16:17], v[16:17], s[0:1]
	v_add_u32_e32 v11, s6, v11
	v_accvgpr_read_b32 v28, a42
	v_accvgpr_read_b32 v29, a43
	global_store_dwordx4 v[10:11], v[16:19], off
	ds_read_b128 v[16:19], v136 offset:12544
	v_accvgpr_read_b32 v27, a41
	s_waitcnt lgkmcnt(1)
	v_mul_f64 v[20:21], v[28:29], v[6:7]
	v_fmac_f64_e32 v[20:21], v[26:27], v[4:5]
	v_mul_f64 v[4:5], v[28:29], v[4:5]
	v_fma_f64 v[4:5], v[26:27], v[6:7], -v[4:5]
	v_mad_u64_u32 v[10:11], s[2:3], s4, v25, v[10:11]
	v_mul_f64 v[20:21], v[20:21], s[0:1]
	v_mul_f64 v[22:23], v[4:5], s[0:1]
	v_add_u32_e32 v11, s7, v11
	global_store_dwordx4 v[10:11], v[20:23], off
	v_mad_u64_u32 v[10:11], s[2:3], s4, v24, v[10:11]
	s_nop 0
	v_accvgpr_read_b32 v20, a34
	v_accvgpr_read_b32 v22, a36
	;; [unrolled: 1-line block ×4, first 2 shown]
	v_mul_f64 v[4:5], v[22:23], v[2:3]
	v_fmac_f64_e32 v[4:5], v[20:21], v[0:1]
	v_mul_f64 v[0:1], v[22:23], v[0:1]
	v_fma_f64 v[0:1], v[20:21], v[2:3], -v[0:1]
	v_mul_f64 v[4:5], v[4:5], s[0:1]
	v_mul_f64 v[6:7], v[0:1], s[0:1]
	v_add_u32_e32 v11, s6, v11
	global_store_dwordx4 v[10:11], v[4:7], off
	v_mad_u64_u32 v[10:11], s[2:3], s4, v25, v[10:11]
	s_nop 0
	v_accvgpr_read_b32 v4, a20
	v_accvgpr_read_b32 v6, a22
	;; [unrolled: 1-line block ×4, first 2 shown]
	s_waitcnt lgkmcnt(0)
	v_mul_f64 v[0:1], v[6:7], v[18:19]
	v_mul_f64 v[2:3], v[6:7], v[16:17]
	v_fmac_f64_e32 v[0:1], v[4:5], v[16:17]
	v_fma_f64 v[2:3], v[4:5], v[18:19], -v[2:3]
	ds_read_b128 v[4:7], v136 offset:28672
	v_accvgpr_read_b32 v18, a30
	v_mul_f64 v[0:1], v[0:1], s[0:1]
	v_mul_f64 v[2:3], v[2:3], s[0:1]
	v_add_u32_e32 v11, s7, v11
	v_accvgpr_read_b32 v20, a32
	v_accvgpr_read_b32 v21, a33
	global_store_dwordx4 v[10:11], v[0:3], off
	ds_read_b128 v[0:3], v136 offset:30464
	v_accvgpr_read_b32 v19, a31
	s_waitcnt lgkmcnt(1)
	v_mul_f64 v[16:17], v[20:21], v[6:7]
	v_fmac_f64_e32 v[16:17], v[18:19], v[4:5]
	v_mul_f64 v[4:5], v[20:21], v[4:5]
	v_fma_f64 v[4:5], v[18:19], v[6:7], -v[4:5]
	v_accvgpr_read_b32 v7, a29
	v_mul_f64 v[18:19], v[4:5], s[0:1]
	v_mad_u64_u32 v[4:5], s[2:3], s4, v7, 0
	v_mov_b32_e32 v6, v5
	v_mad_u64_u32 v[6:7], s[2:3], s5, v7, v[6:7]
	v_mov_b32_e32 v5, v6
	v_mul_f64 v[16:17], v[16:17], s[0:1]
	v_lshl_add_u64 v[4:5], v[4:5], 4, v[8:9]
	global_store_dwordx4 v[4:5], v[16:19], off
	s_nop 1
	v_accvgpr_read_b32 v16, a56
	v_accvgpr_read_b32 v18, a58
	;; [unrolled: 1-line block ×4, first 2 shown]
	v_mul_f64 v[6:7], v[18:19], v[12:13]
	v_mul_f64 v[4:5], v[18:19], v[14:15]
	v_fma_f64 v[6:7], v[16:17], v[14:15], -v[6:7]
	v_accvgpr_read_b32 v15, a38
	v_fmac_f64_e32 v[4:5], v[16:17], v[12:13]
	v_mad_u64_u32 v[12:13], s[2:3], s4, v15, 0
	v_mov_b32_e32 v14, v13
	v_mad_u64_u32 v[14:15], s[2:3], s5, v15, v[14:15]
	v_mov_b32_e32 v13, v14
	v_mul_f64 v[4:5], v[4:5], s[0:1]
	v_mul_f64 v[6:7], v[6:7], s[0:1]
	v_lshl_add_u64 v[8:9], v[12:13], 4, v[8:9]
	global_store_dwordx4 v[8:9], v[4:7], off
	s_nop 1
	v_accvgpr_read_b32 v6, a68
	v_accvgpr_read_b32 v8, a70
	;; [unrolled: 1-line block ×4, first 2 shown]
	s_waitcnt lgkmcnt(0)
	v_mul_f64 v[4:5], v[8:9], v[2:3]
	v_fmac_f64_e32 v[4:5], v[6:7], v[0:1]
	v_mul_f64 v[0:1], v[8:9], v[0:1]
	v_fma_f64 v[0:1], v[6:7], v[2:3], -v[0:1]
	v_mul_f64 v[6:7], v[0:1], s[0:1]
	v_mov_b32_e32 v0, 0x4600
	v_mul_f64 v[4:5], v[4:5], s[0:1]
	v_mad_u64_u32 v[0:1], s[0:1], s4, v0, v[10:11]
	s_mul_i32 s0, s5, 0x4600
	s_nop 0
	v_add_u32_e32 v1, s0, v1
	global_store_dwordx4 v[0:1], v[4:7], off
.LBB0_10:
	s_endpgm
	.section	.rodata,"a",@progbits
	.p2align	6, 0x0
	.amdhsa_kernel bluestein_single_back_len2016_dim1_dp_op_CI_CI
		.amdhsa_group_segment_fixed_size 64512
		.amdhsa_private_segment_fixed_size 0
		.amdhsa_kernarg_size 104
		.amdhsa_user_sgpr_count 2
		.amdhsa_user_sgpr_dispatch_ptr 0
		.amdhsa_user_sgpr_queue_ptr 0
		.amdhsa_user_sgpr_kernarg_segment_ptr 1
		.amdhsa_user_sgpr_dispatch_id 0
		.amdhsa_user_sgpr_kernarg_preload_length 0
		.amdhsa_user_sgpr_kernarg_preload_offset 0
		.amdhsa_user_sgpr_private_segment_size 0
		.amdhsa_uses_dynamic_stack 0
		.amdhsa_enable_private_segment 0
		.amdhsa_system_sgpr_workgroup_id_x 1
		.amdhsa_system_sgpr_workgroup_id_y 0
		.amdhsa_system_sgpr_workgroup_id_z 0
		.amdhsa_system_sgpr_workgroup_info 0
		.amdhsa_system_vgpr_workitem_id 0
		.amdhsa_next_free_vgpr 416
		.amdhsa_next_free_sgpr 28
		.amdhsa_accum_offset 256
		.amdhsa_reserve_vcc 1
		.amdhsa_float_round_mode_32 0
		.amdhsa_float_round_mode_16_64 0
		.amdhsa_float_denorm_mode_32 3
		.amdhsa_float_denorm_mode_16_64 3
		.amdhsa_dx10_clamp 1
		.amdhsa_ieee_mode 1
		.amdhsa_fp16_overflow 0
		.amdhsa_tg_split 0
		.amdhsa_exception_fp_ieee_invalid_op 0
		.amdhsa_exception_fp_denorm_src 0
		.amdhsa_exception_fp_ieee_div_zero 0
		.amdhsa_exception_fp_ieee_overflow 0
		.amdhsa_exception_fp_ieee_underflow 0
		.amdhsa_exception_fp_ieee_inexact 0
		.amdhsa_exception_int_div_zero 0
	.end_amdhsa_kernel
	.text
.Lfunc_end0:
	.size	bluestein_single_back_len2016_dim1_dp_op_CI_CI, .Lfunc_end0-bluestein_single_back_len2016_dim1_dp_op_CI_CI
                                        ; -- End function
	.section	.AMDGPU.csdata,"",@progbits
; Kernel info:
; codeLenInByte = 27884
; NumSgprs: 34
; NumVgprs: 256
; NumAgprs: 160
; TotalNumVgprs: 416
; ScratchSize: 0
; MemoryBound: 0
; FloatMode: 240
; IeeeMode: 1
; LDSByteSize: 64512 bytes/workgroup (compile time only)
; SGPRBlocks: 4
; VGPRBlocks: 51
; NumSGPRsForWavesPerEU: 34
; NumVGPRsForWavesPerEU: 416
; AccumOffset: 256
; Occupancy: 1
; WaveLimiterHint : 1
; COMPUTE_PGM_RSRC2:SCRATCH_EN: 0
; COMPUTE_PGM_RSRC2:USER_SGPR: 2
; COMPUTE_PGM_RSRC2:TRAP_HANDLER: 0
; COMPUTE_PGM_RSRC2:TGID_X_EN: 1
; COMPUTE_PGM_RSRC2:TGID_Y_EN: 0
; COMPUTE_PGM_RSRC2:TGID_Z_EN: 0
; COMPUTE_PGM_RSRC2:TIDIG_COMP_CNT: 0
; COMPUTE_PGM_RSRC3_GFX90A:ACCUM_OFFSET: 63
; COMPUTE_PGM_RSRC3_GFX90A:TG_SPLIT: 0
	.text
	.p2alignl 6, 3212836864
	.fill 256, 4, 3212836864
	.type	__hip_cuid_7835c2bdebca99c0,@object ; @__hip_cuid_7835c2bdebca99c0
	.section	.bss,"aw",@nobits
	.globl	__hip_cuid_7835c2bdebca99c0
__hip_cuid_7835c2bdebca99c0:
	.byte	0                               ; 0x0
	.size	__hip_cuid_7835c2bdebca99c0, 1

	.ident	"AMD clang version 19.0.0git (https://github.com/RadeonOpenCompute/llvm-project roc-6.4.0 25133 c7fe45cf4b819c5991fe208aaa96edf142730f1d)"
	.section	".note.GNU-stack","",@progbits
	.addrsig
	.addrsig_sym __hip_cuid_7835c2bdebca99c0
	.amdgpu_metadata
---
amdhsa.kernels:
  - .agpr_count:     160
    .args:
      - .actual_access:  read_only
        .address_space:  global
        .offset:         0
        .size:           8
        .value_kind:     global_buffer
      - .actual_access:  read_only
        .address_space:  global
        .offset:         8
        .size:           8
        .value_kind:     global_buffer
      - .actual_access:  read_only
        .address_space:  global
        .offset:         16
        .size:           8
        .value_kind:     global_buffer
      - .actual_access:  read_only
        .address_space:  global
        .offset:         24
        .size:           8
        .value_kind:     global_buffer
      - .actual_access:  read_only
        .address_space:  global
        .offset:         32
        .size:           8
        .value_kind:     global_buffer
      - .offset:         40
        .size:           8
        .value_kind:     by_value
      - .address_space:  global
        .offset:         48
        .size:           8
        .value_kind:     global_buffer
      - .address_space:  global
        .offset:         56
        .size:           8
        .value_kind:     global_buffer
      - .address_space:  global
        .offset:         64
        .size:           8
        .value_kind:     global_buffer
      - .address_space:  global
        .offset:         72
        .size:           8
        .value_kind:     global_buffer
      - .offset:         80
        .size:           4
        .value_kind:     by_value
      - .address_space:  global
        .offset:         88
        .size:           8
        .value_kind:     global_buffer
      - .address_space:  global
        .offset:         96
        .size:           8
        .value_kind:     global_buffer
    .group_segment_fixed_size: 64512
    .kernarg_segment_align: 8
    .kernarg_segment_size: 104
    .language:       OpenCL C
    .language_version:
      - 2
      - 0
    .max_flat_workgroup_size: 224
    .name:           bluestein_single_back_len2016_dim1_dp_op_CI_CI
    .private_segment_fixed_size: 0
    .sgpr_count:     34
    .sgpr_spill_count: 0
    .symbol:         bluestein_single_back_len2016_dim1_dp_op_CI_CI.kd
    .uniform_work_group_size: 1
    .uses_dynamic_stack: false
    .vgpr_count:     416
    .vgpr_spill_count: 0
    .wavefront_size: 64
amdhsa.target:   amdgcn-amd-amdhsa--gfx950
amdhsa.version:
  - 1
  - 2
...

	.end_amdgpu_metadata
